;; amdgpu-corpus repo=ROCm/aiter kind=harvested arch=n/a opt=n/a

/root/src/amdgpu-assembly/repos/ROCm__aiter/hsa/gfx942/fp8gemm_blockscale/fp8gemm_bf16_blockscale_BpreShuffle_64x128.co:	file format elf64-amdgpu

Disassembly of section .text:

0000000000002300 <_ZN5aiter42fp8gemm_bf16_blockscale_BpreShuffle_64x128E>:
	s_and_b32 s1, s1, 0xffff                                   // 000000002300: 8601FF01 0000FFFF
	s_load_dwordx2 s[16:17], s[0:1], 0x0                       // 000000002308: C0060400 00000000
	s_load_dwordx2 s[4:5], s[0:1], 0x10                        // 000000002310: C0060100 00000010
	s_load_dwordx2 s[8:9], s[0:1], 0x20                        // 000000002318: C0060200 00000020
	s_load_dwordx2 s[20:21], s[0:1], 0x30                      // 000000002320: C0060500 00000030
	s_load_dwordx2 s[24:25], s[0:1], 0x40                      // 000000002328: C0060600 00000040
	s_load_dwordx2 s[28:29], s[0:1], 0x50                      // 000000002330: C0060700 00000050
	s_load_dword s32, s[0:1], 0x60                             // 000000002338: C0020800 00000060
	s_load_dword s33, s[0:1], 0x70                             // 000000002340: C0020840 00000070
	s_load_dword s34, s[0:1], 0x80                             // 000000002348: C0020880 00000080
	s_load_dword s35, s[0:1], 0x90                             // 000000002350: C00208C0 00000090
	s_load_dword s36, s[0:1], 0xa0                             // 000000002358: C0020900 000000A0
	s_load_dword s37, s[0:1], 0xb0                             // 000000002360: C0020940 000000B0
	s_load_dword s38, s[0:1], 0xc0                             // 000000002368: C0020980 000000C0
	s_load_dword s39, s[0:1], 0xd0                             // 000000002370: C00209C0 000000D0
	s_load_dword s40, s[0:1], 0xe0                             // 000000002378: C0020A00 000000E0
	s_load_dword s41, s[0:1], 0xf0                             // 000000002380: C0020A40 000000F0
	v_lshrrev_b32_e32 v1, 10, v0                               // 000000002388: 2002008A
	v_lshrrev_b32_e32 v2, 10, v1                               // 00000000238C: 2004028A
	v_and_b32_e32 v2, 0x3ff, v2                                // 000000002390: 260404FF 000003FF
	v_and_b32_e32 v1, 0x3ff, v1                                // 000000002398: 260202FF 000003FF
	v_and_b32_e32 v0, 0x3ff, v0                                // 0000000023A0: 260000FF 000003FF
	v_lshrrev_b32_e32 v3, 6, v0                                // 0000000023A8: 20060086
	v_and_b32_e32 v0, 63, v0                                   // 0000000023AC: 260000BF
	s_mov_b32 s44, s2                                          // 0000000023B0: BEAC0002
	s_mov_b32 s45, s3                                          // 0000000023B4: BEAD0003
	s_waitcnt lgkmcnt(0)                                       // 0000000023B8: BF8CC07F
	v_readfirstlane_b32 s47, v3                                // 0000000023BC: 7E5E0503
	s_mov_b32 s6, 0x80000000                                   // 0000000023C0: BE8600FF 80000000
	s_mov_b32 s10, 0x80000000                                  // 0000000023C8: BE8A00FF 80000000
	s_mov_b32 s22, 0x80000000                                  // 0000000023D0: BE9600FF 80000000
	s_mov_b32 s26, 0x80000000                                  // 0000000023D8: BE9A00FF 80000000
	s_mov_b32 s30, 0x80000000                                  // 0000000023E0: BE9E00FF 80000000
	s_mov_b32 s7, 0x20000                                      // 0000000023E8: BE8700FF 00020000
	s_mov_b32 s11, 0x20000                                     // 0000000023F0: BE8B00FF 00020000
	s_mov_b32 s23, 0x20000                                     // 0000000023F8: BE9700FF 00020000
	s_mov_b32 s27, 0x20000                                     // 000000002400: BE9B00FF 00020000
	s_mov_b32 s31, 0x20000                                     // 000000002408: BE9F00FF 00020000
	s_and_b32 s5, s5, 0xffff                                   // 000000002410: 8605FF05 0000FFFF
	s_and_b32 s9, s9, 0xffff                                   // 000000002418: 8609FF09 0000FFFF
	s_and_b32 s21, s21, 0xffff                                 // 000000002420: 8615FF15 0000FFFF
	s_and_b32 s25, s25, 0xffff                                 // 000000002428: 8619FF19 0000FFFF
	s_and_b32 s29, s29, 0xffff                                 // 000000002430: 861DFF1D 0000FFFF
	s_or_b32 s5, s5, 0x40000                                   // 000000002438: 8705FF05 00040000
	s_or_b32 s9, s9, 0x40000                                   // 000000002440: 8709FF09 00040000
	s_or_b32 s21, s21, 0x40000                                 // 000000002448: 8715FF15 00040000
	s_or_b32 s25, s25, 0x40000                                 // 000000002450: 8719FF19 00040000
	s_or_b32 s29, s29, 0x40000                                 // 000000002458: 871DFF1D 00040000
	s_mov_b32 s61, s44                                         // 000000002460: BEBD002C
	s_mov_b32 s62, s38                                         // 000000002464: BEBE0026
	v_cvt_f32_u32_e32 v4, s62                                  // 000000002468: 7E080C3E
	s_sub_i32 s50, 0, s62                                      // 00000000246C: 81B23E80
	v_rcp_iflag_f32_e32 v4, v4                                 // 000000002470: 7E084704
	s_nop 0                                                    // 000000002474: BF800000
	v_mul_f32_e32 v4, 0x4f7ffffe, v4                           // 000000002478: 0A0808FF 4F7FFFFE
	v_cvt_u32_f32_e32 v4, v4                                   // 000000002480: 7E080F04
	v_mul_lo_u32 v5, s50, v4                                   // 000000002484: D2850005 00020832
	v_mul_hi_u32 v5, v4, v5                                    // 00000000248C: D2860005 00020B04
	v_add_u32_e32 v4, v4, v5                                   // 000000002494: 68080B04
	v_mul_hi_u32 v4, s61, v4                                   // 000000002498: D2860004 0002083D
	v_mul_lo_u32 v5, v4, s62                                   // 0000000024A0: D2850005 00007D04
	v_sub_u32_e32 v7, s61, v5                                  // 0000000024A8: 6A0E0A3D
	v_add_u32_e32 v6, 1, v4                                    // 0000000024AC: 680C0881
	v_cmp_le_u32_e32 vcc, s62, v7                              // 0000000024B0: 7D960E3E
	v_subrev_u32_e32 v5, s62, v7                               // 0000000024B4: 6C0A0E3E
	s_nop 0                                                    // 0000000024B8: BF800000
	v_cndmask_b32_e32 v4, v4, v6, vcc                          // 0000000024BC: 00080D04
	v_cndmask_b32_e32 v7, v7, v5, vcc                          // 0000000024C0: 000E0B07
	v_add_u32_e32 v5, 1, v4                                    // 0000000024C4: 680A0881
	v_cmp_le_u32_e32 vcc, s62, v7                              // 0000000024C8: 7D960E3E
	s_nop 1                                                    // 0000000024CC: BF800001
	v_cndmask_b32_e32 v7, v4, v5, vcc                          // 0000000024D0: 000E0B04
	s_nop 3                                                    // 0000000024D4: BF800003
	v_readfirstlane_b32 s63, v7                                // 0000000024D8: 7E7E0507
	s_nop 3                                                    // 0000000024DC: BF800003
	s_mov_b32 s44, s63                                         // 0000000024E0: BEAC003F
	s_mul_i32 s50, s44, s38                                    // 0000000024E4: 9232262C
	s_sub_u32 s75, s61, s50                                    // 0000000024E8: 80CB323D
	s_mov_b32 s61, s34                                         // 0000000024EC: BEBD0022
	s_mov_b32 s62, s38                                         // 0000000024F0: BEBE0026
	v_cvt_f32_u32_e32 v4, s62                                  // 0000000024F4: 7E080C3E
	s_sub_i32 s50, 0, s62                                      // 0000000024F8: 81B23E80
	v_rcp_iflag_f32_e32 v4, v4                                 // 0000000024FC: 7E084704
	s_nop 0                                                    // 000000002500: BF800000
	v_mul_f32_e32 v4, 0x4f7ffffe, v4                           // 000000002504: 0A0808FF 4F7FFFFE
	v_cvt_u32_f32_e32 v4, v4                                   // 00000000250C: 7E080F04
	v_mul_lo_u32 v5, s50, v4                                   // 000000002510: D2850005 00020832
	v_mul_hi_u32 v5, v4, v5                                    // 000000002518: D2860005 00020B04
	v_add_u32_e32 v4, v4, v5                                   // 000000002520: 68080B04
	v_mul_hi_u32 v4, s61, v4                                   // 000000002524: D2860004 0002083D
	v_mul_lo_u32 v5, v4, s62                                   // 00000000252C: D2850005 00007D04
	v_sub_u32_e32 v7, s61, v5                                  // 000000002534: 6A0E0A3D
	v_add_u32_e32 v6, 1, v4                                    // 000000002538: 680C0881
	v_cmp_le_u32_e32 vcc, s62, v7                              // 00000000253C: 7D960E3E
	v_subrev_u32_e32 v5, s62, v7                               // 000000002540: 6C0A0E3E
	s_nop 0                                                    // 000000002544: BF800000
	v_cndmask_b32_e32 v4, v4, v6, vcc                          // 000000002548: 00080D04
	v_cndmask_b32_e32 v7, v7, v5, vcc                          // 00000000254C: 000E0B07
	v_add_u32_e32 v5, 1, v4                                    // 000000002550: 680A0881
	v_cmp_le_u32_e32 vcc, s62, v7                              // 000000002554: 7D960E3E
	s_nop 1                                                    // 000000002558: BF800001
	v_cndmask_b32_e32 v7, v4, v5, vcc                          // 00000000255C: 000E0B04
	s_nop 3                                                    // 000000002560: BF800003
	v_readfirstlane_b32 s63, v7                                // 000000002564: 7E7E0507
	s_nop 3                                                    // 000000002568: BF800003
	s_add_u32 s63, 0x7f, s63                                   // 00000000256C: 803F3FFF 0000007F
	s_lshr_b32 s63, s63, 7                                     // 000000002574: 8F3F873F
	s_lshl_b32 s76, s63, 7                                     // 000000002578: 8E4C873F
	s_mul_i32 s51, s76, s75                                    // 00000000257C: 92334B4C
	s_sub_i32 s50, s34, s51                                    // 000000002580: 81B23322
	s_cmp_lt_i32 s50, s76                                      // 000000002584: BF044C32
	s_cselect_b32 s34, s50, s76                                // 000000002588: 85224C32
	s_mul_i32 s50, s45, 64                                     // 00000000258C: 9232C02D
	s_mul_i32 s51, s50, s37                                    // 000000002590: 92332532
	s_mul_hi_u32 s52, s50, s37                                 // 000000002594: 96342532
	s_add_u32 s16, s16, s51                                    // 000000002598: 80103310
	s_addc_u32 s17, s17, s52                                   // 00000000259C: 82113411
	s_mul_i32 s50, s44, 0x80                                   // 0000000025A0: 9232FF2C 00000080
	s_mul_i32 s51, s50, 2                                      // 0000000025A8: 92338232
	s_mul_hi_u32 s52, s50, 2                                   // 0000000025AC: 96348232
	s_add_u32 s16, s16, s51                                    // 0000000025B0: 80103310
	s_addc_u32 s17, s17, s52                                   // 0000000025B4: 82113411
	s_mov_b32 s80, s16                                         // 0000000025B8: BED00010
	s_mov_b32 s81, s17                                         // 0000000025BC: BED10011
	s_mul_i32 s50, s45, 64                                     // 0000000025C0: 9232C02D
	s_sub_i32 s51, s32, s50                                    // 0000000025C4: 81B33220
	s_cmp_lt_u32 s51, 64                                       // 0000000025C8: BF0AC033
	s_cselect_b32 s50, s51, 64                                 // 0000000025CC: 8532C033
	s_mul_i32 s51, s50, s37                                    // 0000000025D0: 92332532
	s_mov_b32 s18, s51                                         // 0000000025D4: BE920033
	s_mov_b32 s82, 0x80000000                                  // 0000000025D8: BED200FF 80000000
	s_mov_b32 s19, 0x20000                                     // 0000000025E0: BE9300FF 00020000
	s_and_b32 s17, s17, 0xffff                                 // 0000000025E8: 8611FF11 0000FFFF
	s_and_b32 s81, s81, 0xffff                                 // 0000000025F0: 8651FF51 0000FFFF
	s_or_b32 s17, s17, 0x40000                                 // 0000000025F8: 8711FF11 00040000
	s_mov_b32 s48, 0x7060302                                   // 000000002600: BEB000FF 07060302
	v_mov_b32_e32 v9, 0xffff0000                               // 000000002608: 7E1202FF FFFF0000
	v_mov_b32_e32 v10, 0x7fff0000                              // 000000002610: 7E1402FF 7FFF0000
	v_mov_b32_e32 v11, 0x7fff                                  // 000000002618: 7E1602FF 00007FFF
	s_mul_i32 s50, 0x80, s44                                   // 000000002620: 92322CFF 00000080
	s_mul_hi_u32 s51, 4, s50                                   // 000000002628: 96333284
	s_add_u32 s29, s29, s51                                    // 00000000262C: 801D331D
	s_mul_i32 s51, 4, s50                                      // 000000002630: 92333284
	s_add_u32 s28, s28, s51                                    // 000000002634: 801C331C
	s_addc_u32 s29, s29, 0                                     // 000000002638: 821D801D
	s_sub_i32 s51, s33, s50                                    // 00000000263C: 81B33221
	s_cmp_lt_u32 s51, 0x80                                     // 000000002640: BF0AFF33 00000080
	s_cselect_b32 s50, s51, 0x80                               // 000000002648: 8532FF33 00000080
	s_mul_i32 s51, 4, s50                                      // 000000002650: 92333284
	s_mov_b32 s30, s51                                         // 000000002654: BE9E0033
	s_mov_b32 s31, 0x20000                                     // 000000002658: BE9F00FF 00020000
	v_lshrrev_b32_e32 v4, 4, v0                                // 000000002660: 20080084
	v_lshlrev_b32_e32 v4, 4, v4                                // 000000002664: 24080884
	s_mul_i32 s52, s47, 0x80                                   // 000000002668: 9234FF2F 00000080
	v_add_u32_e64 v4, v4, s52                                  // 000000002670: D1340004 00006904
	v_add_u32_e64 v5, v4, 64                                   // 000000002678: D1340005 00018104
	buffer_load_dwordx4 v[12:15], v4, s[28:31], 0 offen        // 000000002680: E05C1000 80070C04
	buffer_load_dwordx4 v[16:19], v5, s[28:31], 0 offen        // 000000002688: E05C1000 80071005
	s_mul_i32 s50, 64, s45                                     // 000000002690: 92322DC0
	s_mul_hi_u32 s52, 4, s50                                   // 000000002694: 96343284
	s_mul_i32 s51, 4, s50                                      // 000000002698: 92333284
	s_add_u32 s20, s20, s51                                    // 00000000269C: 80143314
	s_addc_u32 s21, s21, s52                                   // 0000000026A0: 82153415
	s_sub_i32 s51, s32, s50                                    // 0000000026A4: 81B33220
	s_cmp_lt_u32 s51, 64                                       // 0000000026A8: BF0AC033
	s_cselect_b32 s50, s51, 64                                 // 0000000026AC: 8532C033
	s_lshl_b32 s51, s50, 2                                     // 0000000026B0: 8E338232
	s_mov_b32 s22, s51                                         // 0000000026B4: BE960033
	s_mov_b32 s23, 0x20000                                     // 0000000026B8: BE9700FF 00020000
	s_lshr_b32 s50, s76, 7                                     // 0000000026C0: 8F32874C
	s_mul_i32 s50, s50, s75                                    // 0000000026C4: 92324B32
	s_mul_i32 s51, s50, s32                                    // 0000000026C8: 92332032
	s_mul_hi_u32 s52, s50, s32                                 // 0000000026CC: 96342032
	s_lshr_b32 s50, s51, 30                                    // 0000000026D0: 8F329E33
	s_lshl_b32 s51, s51, 2                                     // 0000000026D4: 8E338233
	s_lshl_b32 s52, s52, 2                                     // 0000000026D8: 8E348234
	s_add_u32 s52, s52, s50                                    // 0000000026DC: 80343234
	s_add_u32 s20, s20, s51                                    // 0000000026E0: 80143314
	s_addc_u32 s21, s21, s52                                   // 0000000026E4: 82153415
	v_and_b32_e64 v135, v0, 15                                 // 0000000026E8: D1130087 00011F00
	v_lshlrev_b32_e32 v135, 2, v135                            // 0000000026F0: 250F0E82
	s_mov_b32 s50, 64                                          // 0000000026F4: BEB200C0
	v_add_u32_e64 v136, v135, s50                              // 0000000026F8: D1340088 00006587
	s_mov_b32 s50, 0x80                                        // 000000002700: BEB200FF 00000080
	v_add_u32_e64 v137, v135, s50                              // 000000002708: D1340089 00006587
	s_mov_b32 s50, 0xc0                                        // 000000002710: BEB200FF 000000C0
	v_add_u32_e64 v138, v135, s50                              // 000000002718: D134008A 00006587
	s_mul_i32 s51, s41, s44                                    // 000000002720: 92332C29
	s_mul_hi_u32 s52, 4, s51                                   // 000000002724: 96343384
	s_add_u32 s25, s25, s52                                    // 000000002728: 80193419
	s_mul_i32 s52, 4, s51                                      // 00000000272C: 92343384
	s_add_u32 s24, s24, s52                                    // 000000002730: 80183418
	s_addc_u32 s25, s25, 0                                     // 000000002734: 82198019
	s_lshr_b32 s50, s76, 7                                     // 000000002738: 8F32874C
	s_mul_i32 s50, s50, s75                                    // 00000000273C: 92324B32
	s_lshl_b32 s50, s50, 2                                     // 000000002740: 8E328232
	s_add_u32 s24, s24, s50                                    // 000000002744: 80183218
	s_addc_u32 s25, s25, 0                                     // 000000002748: 82198019
	s_sub_u32 s26, s26, s50                                    // 00000000274C: 809A321A
	v_mov_b32_e32 v143, 0                                      // 000000002750: 7F1E0280
	v_lshrrev_b32_e32 v4, 5, v0                                // 000000002754: 20080085
	v_lshlrev_b32_e32 v4, 2, v4                                // 000000002758: 24080882
	v_mul_i32_i24_e32 v4, s35, v4                              // 00000000275C: 0C080823
	v_and_b32_e32 v34, 31, v0                                  // 000000002760: 2644009F
	v_lshlrev_b32_e32 v34, 2, v34                              // 000000002764: 24444482
	s_mul_i32 s50, 64, s45                                     // 000000002768: 92322DC0
	s_sub_i32 s51, s32, s50                                    // 00000000276C: 81B33220
	s_cmp_lt_u32 s51, 64                                       // 000000002770: BF0AC033
	s_cselect_b32 s51, s51, 64                                 // 000000002774: 8533C033
	s_mul_i32 s52, s35, s50                                    // 000000002778: 92343223
	s_mul_hi_u32 s50, s35, s50                                 // 00000000277C: 96323223
	s_add_u32 s4, s4, s52                                      // 000000002780: 80043404
	s_addc_u32 s5, s5, s50                                     // 000000002784: 82053205
	s_mul_i32 s50, s35, s51                                    // 000000002788: 92323323
	s_mov_b32 s6, s50                                          // 00000000278C: BE860032
	s_mov_b32 s7, 0x20000                                      // 000000002790: BE8700FF 00020000
	s_mul_i32 s51, s76, s75                                    // 000000002798: 92334B4C
	s_add_u32 s4, s51, s4                                      // 00000000279C: 80040433
	s_addc_u32 s5, 0, s5                                       // 0000000027A0: 82050580
	s_sub_u32 s6, s6, s51                                      // 0000000027A4: 80863306
	s_mul_i32 s50, s35, s47                                    // 0000000027A8: 92322F23
	v_add3_u32 v34, v4, v34, s50                               // 0000000027AC: D1FF0022 00CA4504
	s_lshl_b32 s50, s35, 3                                     // 0000000027B4: 8E328323
	v_add_u32_e32 v35, s50, v34                                // 0000000027B8: 68464432
	v_add_u32_e32 v36, s50, v35                                // 0000000027BC: 68484632
	v_add_u32_e32 v37, s50, v36                                // 0000000027C0: 684A4832
	v_add_u32_e32 v38, s50, v37                                // 0000000027C4: 684C4A32
	v_add_u32_e32 v39, s50, v38                                // 0000000027C8: 684E4C32
	v_add_u32_e32 v40, s50, v39                                // 0000000027CC: 68504E32
	v_add_u32_e32 v41, s50, v40                                // 0000000027D0: 68525032
	s_mov_b32 s54, 0x80                                        // 0000000027D4: BEB600FF 00000080
	s_mul_i32 s56, s32, 4                                      // 0000000027DC: 92388420
	s_mov_b32 s57, 4                                           // 0000000027E0: BEB90084
	s_mov_b32 s50, 64                                          // 0000000027E4: BEB200C0
	s_lshr_b32 s50, s50, 2                                     // 0000000027E8: 8F328232
	s_mul_i32 s50, s50, 32                                     // 0000000027EC: 9232A032
	s_mov_b32 s51, 8                                           // 0000000027F0: BEB30088
	s_add_u32 s50, s50, s51                                    // 0000000027F4: 80323332
	v_lshrrev_b32_e32 v4, 4, v0                                // 0000000027F8: 20080084
	v_and_b32_e32 v5, 15, v0                                   // 0000000027FC: 260A008F
	v_and_b32_e32 v6, 3, v5                                    // 000000002800: 260C0A83
	v_lshrrev_b32_e32 v7, 2, v5                                // 000000002804: 200E0A82
	v_lshlrev_b32_e32 v4, 2, v4                                // 000000002808: 24080882
	v_mul_lo_u32 v6, v6, s50                                   // 00000000280C: D2850006 00006506
	v_lshlrev_b32_e32 v7, 5, v7                                // 000000002814: 240E0E85
	v_add_u32_e32 v4, v4, v6                                   // 000000002818: 68080D04
	v_add_u32_e32 v4, v4, v7                                   // 00000000281C: 68080F04
	v_lshlrev_b32_e32 v42, 2, v4                               // 000000002820: 24540882
	s_mul_i32 s50, 0x820, s47                                  // 000000002824: 92322FFF 00000820
	s_add_u32 s58, 0, s50                                      // 00000000282C: 803A3280
	s_add_u32 s59, 0x2080, s58                                 // 000000002830: 803B3AFF 00002080
	s_add_u32 s60, 0x2080, s59                                 // 000000002838: 803C3BFF 00002080
	s_mov_b32 s55, 0x800                                       // 000000002840: BEB700FF 00000800
	s_mul_i32 s49, 0x80, s44                                   // 000000002848: 92312CFF 00000080
	s_sub_i32 s51, s33, s49                                    // 000000002850: 81B33121
	s_cmp_lt_u32 s51, 0x80                                     // 000000002854: BF0AFF33 00000080
	s_cselect_b32 s50, s51, 0x80                               // 00000000285C: 8532FF33 00000080
	s_mul_i32 s51, s36, s49                                    // 000000002864: 92333124
	s_mul_hi_u32 s52, s36, s49                                 // 000000002868: 96343124
	s_add_u32 s8, s8, s51                                      // 00000000286C: 80083308
	s_addc_u32 s9, s9, s52                                     // 000000002870: 82093409
	s_mul_i32 s51, s36, s50                                    // 000000002874: 92333224
	s_mov_b32 s10, s51                                         // 000000002878: BE8A0033
	s_mov_b32 s11, 0x20000                                     // 00000000287C: BE8B00FF 00020000
	s_lshr_b32 s51, s76, 7                                     // 000000002884: 8F33874C
	s_mul_i32 s50, s55, s75                                    // 000000002888: 92324B37
	s_mul_i32 s50, s51, s50                                    // 00000000288C: 92323233
	s_add_u32 s8, s50, s8                                      // 000000002890: 80080832
	s_addc_u32 s9, 0, s9                                       // 000000002894: 82090980
	s_sub_u32 s10, s10, s50                                    // 000000002898: 808A320A
	s_lshl_b32 s50, s47, 5                                     // 00000000289C: 8E32852F
	s_mul_i32 s50, s36, s50                                    // 0000000028A0: 92323224
	v_lshlrev_b32_e32 v30, 4, v0                               // 0000000028A4: 243C0084
	v_add_u32_e32 v30, s50, v30                                // 0000000028A8: 683C3C32
	s_mov_b32 s50, 0x400                                       // 0000000028AC: BEB200FF 00000400
	v_add_u32_e64 v31, v30, s50                                // 0000000028B4: D134001F 0000651E
	s_mul_i32 s50, s36, 16                                     // 0000000028BC: 92329024
	v_add_u32_e64 v32, v30, s50                                // 0000000028C0: D1340020 0000651E
	v_add_u32_e64 v33, v31, s50                                // 0000000028C8: D1340021 0000651F
	s_add_u32 m0, 0, s58                                       // 0000000028D0: 807C3A80
	buffer_load_dword v34, s[4:7], 0 offen lds                 // 0000000028D4: E0511000 80010022
	s_add_u32 m0, 0x100, s58                                   // 0000000028DC: 807C3AFF 00000100
	buffer_load_dword v35, s[4:7], 0 offen lds                 // 0000000028E4: E0511000 80010023
	s_add_u32 m0, 0x200, s58                                   // 0000000028EC: 807C3AFF 00000200
	buffer_load_dword v36, s[4:7], 0 offen lds                 // 0000000028F4: E0511000 80010024
	s_add_u32 m0, 0x300, s58                                   // 0000000028FC: 807C3AFF 00000300
	buffer_load_dword v37, s[4:7], 0 offen lds                 // 000000002904: E0511000 80010025
	s_add_u32 m0, 0x400, s58                                   // 00000000290C: 807C3AFF 00000400
	buffer_load_dword v38, s[4:7], 0 offen lds                 // 000000002914: E0511000 80010026
	s_add_u32 m0, 0x500, s58                                   // 00000000291C: 807C3AFF 00000500
	buffer_load_dword v39, s[4:7], 0 offen lds                 // 000000002924: E0511000 80010027
	s_add_u32 m0, 0x600, s58                                   // 00000000292C: 807C3AFF 00000600
	buffer_load_dword v40, s[4:7], 0 offen lds                 // 000000002934: E0511000 80010028
	s_add_u32 m0, 0x700, s58                                   // 00000000293C: 807C3AFF 00000700
	buffer_load_dword v41, s[4:7], 0 offen lds                 // 000000002944: E0511000 80010029
	s_mov_b32 s53, 0                                           // 00000000294C: BEB50080
	s_add_u32 s50, 0x80, s53                                   // 000000002950: 803235FF 00000080
	s_cmp_lt_u32 s50, s34                                      // 000000002958: BF0A2232
	s_cselect_b32 s54, s54, 0                                  // 00000000295C: 85368036
	s_add_u32 s4, s54, s4                                      // 000000002960: 80040436
	s_addc_u32 s5, 0, s5                                       // 000000002964: 82050580
	s_sub_u32 s6, s6, s54                                      // 000000002968: 80863606
	buffer_load_dword v108, v135, s[20:23], 0 offen            // 00000000296C: E0501000 80056C87
	buffer_load_dword v109, v136, s[20:23], 0 offen            // 000000002974: E0501000 80056D88
	buffer_load_dword v110, v137, s[20:23], 0 offen            // 00000000297C: E0501000 80056E89
	buffer_load_dword v111, v138, s[20:23], 0 offen            // 000000002984: E0501000 80056F8A
	s_add_u32 s50, 0x80, s53                                   // 00000000298C: 803235FF 00000080
	s_cmp_lt_u32 s50, s34                                      // 000000002994: BF0A2232
	s_cselect_b32 s56, s56, 0                                  // 000000002998: 85388038
	s_add_u32 s20, s56, s20                                    // 00000000299C: 80141438
	s_addc_u32 s21, 0, s21                                     // 0000000029A0: 82151580
	v_mov_b32_e32 v76, 0                                       // 0000000029A4: 7E980280
	v_mov_b32_e32 v77, 0                                       // 0000000029A8: 7E9A0280
	v_mov_b32_e32 v78, 0                                       // 0000000029AC: 7E9C0280
	v_mov_b32_e32 v79, 0                                       // 0000000029B0: 7E9E0280
	v_mov_b32_e32 v80, 0                                       // 0000000029B4: 7EA00280
	v_mov_b32_e32 v81, 0                                       // 0000000029B8: 7EA20280
	v_mov_b32_e32 v82, 0                                       // 0000000029BC: 7EA40280
	v_mov_b32_e32 v83, 0                                       // 0000000029C0: 7EA60280
	buffer_load_dwordx4 a[0:3], v30, s[8:11], 0 offen          // 0000000029C4: E05C1000 8082001E
	buffer_load_dwordx4 a[4:7], v31, s[8:11], 0 offen          // 0000000029CC: E05C1000 8082041F
	buffer_load_dwordx4 a[8:11], v32, s[8:11], 0 offen         // 0000000029D4: E05C1000 80820820
	buffer_load_dwordx4 a[12:15], v33, s[8:11], 0 offen        // 0000000029DC: E05C1000 80820C21
	s_mov_b32 s53, 0                                           // 0000000029E4: BEB50080
	s_add_u32 s50, 0x80, s53                                   // 0000000029E8: 803235FF 00000080
	s_cmp_lt_u32 s50, s34                                      // 0000000029F0: BF0A2232
	s_cselect_b32 s55, s55, 0                                  // 0000000029F4: 85378037
	s_add_u32 s8, s55, s8                                      // 0000000029F8: 80080837
	s_addc_u32 s9, 0, s9                                       // 0000000029FC: 82090980
	s_sub_u32 s10, s10, s55                                    // 000000002A00: 808A370A
	buffer_load_dword v132, v143, s[24:27], 0 offen            // 000000002A04: E0501000 8006848F
	s_add_u32 s50, 0x80, s53                                   // 000000002A0C: 803235FF 00000080
	s_cmp_lt_u32 s50, s34                                      // 000000002A14: BF0A2232
	s_cselect_b32 s57, s57, 0                                  // 000000002A18: 85398039
	s_add_u32 s24, s57, s24                                    // 000000002A1C: 80181839
	s_addc_u32 s25, 0, s25                                     // 000000002A20: 82191980
	s_sub_u32 s26, s26, s57                                    // 000000002A24: 809A391A
	s_add_u32 m0, 0, s59                                       // 000000002A28: 807C3B80
	buffer_load_dword v34, s[4:7], 0 offen lds                 // 000000002A2C: E0511000 80010022
	s_add_u32 m0, 0x100, s59                                   // 000000002A34: 807C3BFF 00000100
	buffer_load_dword v35, s[4:7], 0 offen lds                 // 000000002A3C: E0511000 80010023
	s_add_u32 m0, 0x200, s59                                   // 000000002A44: 807C3BFF 00000200
	buffer_load_dword v36, s[4:7], 0 offen lds                 // 000000002A4C: E0511000 80010024
	s_add_u32 m0, 0x300, s59                                   // 000000002A54: 807C3BFF 00000300
	buffer_load_dword v37, s[4:7], 0 offen lds                 // 000000002A5C: E0511000 80010025
	s_add_u32 m0, 0x400, s59                                   // 000000002A64: 807C3BFF 00000400
	buffer_load_dword v38, s[4:7], 0 offen lds                 // 000000002A6C: E0511000 80010026
	s_add_u32 m0, 0x500, s59                                   // 000000002A74: 807C3BFF 00000500
	buffer_load_dword v39, s[4:7], 0 offen lds                 // 000000002A7C: E0511000 80010027
	s_add_u32 m0, 0x600, s59                                   // 000000002A84: 807C3BFF 00000600
	buffer_load_dword v40, s[4:7], 0 offen lds                 // 000000002A8C: E0511000 80010028
	s_add_u32 m0, 0x700, s59                                   // 000000002A94: 807C3BFF 00000700
	buffer_load_dword v41, s[4:7], 0 offen lds                 // 000000002A9C: E0511000 80010029
	s_mov_b32 s53, 0x80                                        // 000000002AA4: BEB500FF 00000080
	s_add_u32 s50, 0x80, s53                                   // 000000002AAC: 803235FF 00000080
	s_cmp_lt_u32 s50, s34                                      // 000000002AB4: BF0A2232
	s_cselect_b32 s54, s54, 0                                  // 000000002AB8: 85368036
	s_add_u32 s4, s54, s4                                      // 000000002ABC: 80040436
	s_addc_u32 s5, 0, s5                                       // 000000002AC0: 82050580
	s_sub_u32 s6, s6, s54                                      // 000000002AC4: 80863606
	buffer_load_dword v112, v135, s[20:23], 0 offen            // 000000002AC8: E0501000 80057087
	buffer_load_dword v113, v136, s[20:23], 0 offen            // 000000002AD0: E0501000 80057188
	buffer_load_dword v114, v137, s[20:23], 0 offen            // 000000002AD8: E0501000 80057289
	buffer_load_dword v115, v138, s[20:23], 0 offen            // 000000002AE0: E0501000 8005738A
	s_add_u32 s50, 0x80, s53                                   // 000000002AE8: 803235FF 00000080
	s_cmp_lt_u32 s50, s34                                      // 000000002AF0: BF0A2232
	s_cselect_b32 s56, s56, 0                                  // 000000002AF4: 85388038
	s_add_u32 s20, s56, s20                                    // 000000002AF8: 80141438
	s_addc_u32 s21, 0, s21                                     // 000000002AFC: 82151580
	v_mov_b32_e32 v84, 0                                       // 000000002B00: 7EA80280
	v_mov_b32_e32 v85, 0                                       // 000000002B04: 7EAA0280
	v_mov_b32_e32 v86, 0                                       // 000000002B08: 7EAC0280
	v_mov_b32_e32 v87, 0                                       // 000000002B0C: 7EAE0280
	v_mov_b32_e32 v88, 0                                       // 000000002B10: 7EB00280
	v_mov_b32_e32 v89, 0                                       // 000000002B14: 7EB20280
	v_mov_b32_e32 v90, 0                                       // 000000002B18: 7EB40280
	v_mov_b32_e32 v91, 0                                       // 000000002B1C: 7EB60280
	buffer_load_dwordx4 a[16:19], v30, s[8:11], 0 offen        // 000000002B20: E05C1000 8082101E
	buffer_load_dwordx4 a[20:23], v31, s[8:11], 0 offen        // 000000002B28: E05C1000 8082141F
	buffer_load_dwordx4 a[24:27], v32, s[8:11], 0 offen        // 000000002B30: E05C1000 80821820
	buffer_load_dwordx4 a[28:31], v33, s[8:11], 0 offen        // 000000002B38: E05C1000 80821C21
	s_mov_b32 s53, 0x80                                        // 000000002B40: BEB500FF 00000080
	s_add_u32 s50, 0x80, s53                                   // 000000002B48: 803235FF 00000080
	s_cmp_lt_u32 s50, s34                                      // 000000002B50: BF0A2232
	s_cselect_b32 s55, s55, 0                                  // 000000002B54: 85378037
	s_add_u32 s8, s55, s8                                      // 000000002B58: 80080837
	s_addc_u32 s9, 0, s9                                       // 000000002B5C: 82090980
	s_sub_u32 s10, s10, s55                                    // 000000002B60: 808A370A
	buffer_load_dword v133, v143, s[24:27], 0 offen            // 000000002B64: E0501000 8006858F
	s_add_u32 s50, 0x80, s53                                   // 000000002B6C: 803235FF 00000080
	s_cmp_lt_u32 s50, s34                                      // 000000002B74: BF0A2232
	s_cselect_b32 s57, s57, 0                                  // 000000002B78: 85398039
	s_add_u32 s24, s57, s24                                    // 000000002B7C: 80181839
	s_addc_u32 s25, 0, s25                                     // 000000002B80: 82191980
	s_sub_u32 s26, s26, s57                                    // 000000002B84: 809A391A
	s_add_u32 m0, 0, s60                                       // 000000002B88: 807C3C80
	buffer_load_dword v34, s[4:7], 0 offen lds                 // 000000002B8C: E0511000 80010022
	s_add_u32 m0, 0x100, s60                                   // 000000002B94: 807C3CFF 00000100
	buffer_load_dword v35, s[4:7], 0 offen lds                 // 000000002B9C: E0511000 80010023
	s_add_u32 m0, 0x200, s60                                   // 000000002BA4: 807C3CFF 00000200
	buffer_load_dword v36, s[4:7], 0 offen lds                 // 000000002BAC: E0511000 80010024
	s_add_u32 m0, 0x300, s60                                   // 000000002BB4: 807C3CFF 00000300
	buffer_load_dword v37, s[4:7], 0 offen lds                 // 000000002BBC: E0511000 80010025
	s_add_u32 m0, 0x400, s60                                   // 000000002BC4: 807C3CFF 00000400
	buffer_load_dword v38, s[4:7], 0 offen lds                 // 000000002BCC: E0511000 80010026
	s_add_u32 m0, 0x500, s60                                   // 000000002BD4: 807C3CFF 00000500
	buffer_load_dword v39, s[4:7], 0 offen lds                 // 000000002BDC: E0511000 80010027
	s_add_u32 m0, 0x600, s60                                   // 000000002BE4: 807C3CFF 00000600
	buffer_load_dword v40, s[4:7], 0 offen lds                 // 000000002BEC: E0511000 80010028
	s_add_u32 m0, 0x700, s60                                   // 000000002BF4: 807C3CFF 00000700
	buffer_load_dword v41, s[4:7], 0 offen lds                 // 000000002BFC: E0511000 80010029
	s_mov_b32 s53, 0x100                                       // 000000002C04: BEB500FF 00000100
	s_add_u32 s50, 0x80, s53                                   // 000000002C0C: 803235FF 00000080
	s_cmp_lt_u32 s50, s34                                      // 000000002C14: BF0A2232
	s_cselect_b32 s54, s54, 0                                  // 000000002C18: 85368036
	s_add_u32 s4, s54, s4                                      // 000000002C1C: 80040436
	s_addc_u32 s5, 0, s5                                       // 000000002C20: 82050580
	s_sub_u32 s6, s6, s54                                      // 000000002C24: 80863606
	buffer_load_dword v116, v135, s[20:23], 0 offen            // 000000002C28: E0501000 80057487
	buffer_load_dword v117, v136, s[20:23], 0 offen            // 000000002C30: E0501000 80057588
	buffer_load_dword v118, v137, s[20:23], 0 offen            // 000000002C38: E0501000 80057689
	buffer_load_dword v119, v138, s[20:23], 0 offen            // 000000002C40: E0501000 8005778A
	s_add_u32 s50, 0x80, s53                                   // 000000002C48: 803235FF 00000080
	s_cmp_lt_u32 s50, s34                                      // 000000002C50: BF0A2232
	s_cselect_b32 s56, s56, 0                                  // 000000002C54: 85388038
	s_add_u32 s20, s56, s20                                    // 000000002C58: 80141438
	s_addc_u32 s21, 0, s21                                     // 000000002C5C: 82151580
	v_mov_b32_e32 v92, 0                                       // 000000002C60: 7EB80280
	v_mov_b32_e32 v93, 0                                       // 000000002C64: 7EBA0280
	v_mov_b32_e32 v94, 0                                       // 000000002C68: 7EBC0280
	v_mov_b32_e32 v95, 0                                       // 000000002C6C: 7EBE0280
	v_mov_b32_e32 v96, 0                                       // 000000002C70: 7EC00280
	v_mov_b32_e32 v97, 0                                       // 000000002C74: 7EC20280
	v_mov_b32_e32 v98, 0                                       // 000000002C78: 7EC40280
	v_mov_b32_e32 v99, 0                                       // 000000002C7C: 7EC60280
	v_mov_b32_e32 v100, 0                                      // 000000002C80: 7EC80280
	v_mov_b32_e32 v101, 0                                      // 000000002C84: 7ECA0280
	v_mov_b32_e32 v102, 0                                      // 000000002C88: 7ECC0280
	v_mov_b32_e32 v103, 0                                      // 000000002C8C: 7ECE0280
	v_mov_b32_e32 v104, 0                                      // 000000002C90: 7ED00280
	v_mov_b32_e32 v105, 0                                      // 000000002C94: 7ED20280
	v_mov_b32_e32 v106, 0                                      // 000000002C98: 7ED40280
	v_mov_b32_e32 v107, 0                                      // 000000002C9C: 7ED60280
	s_mov_b32 s43, s34                                         // 000000002CA0: BEAB0022
	s_mov_b32 s42, 0                                           // 000000002CA4: BEAA0080
	s_waitcnt vmcnt(34)                                        // 000000002CA8: BF8C8F72
	s_barrier                                                  // 000000002CAC: BF8A0000
	ds_read_b128 a[48:51], v42                                 // 000000002CB0: DBFE0000 3000002A
	ds_read_b128 a[52:55], v42 offset:64                       // 000000002CB8: DBFE0040 3400002A
	ds_read_b128 a[56:59], v42 offset:512                      // 000000002CC0: DBFE0200 3800002A
	ds_read_b128 a[60:63], v42 offset:576                      // 000000002CC8: DBFE0240 3C00002A
	ds_read_b128 a[64:67], v42 offset:1024                     // 000000002CD0: DBFE0400 4000002A
	ds_read_b128 a[68:71], v42 offset:1088                     // 000000002CD8: DBFE0440 4400002A
	ds_read_b128 a[72:75], v42 offset:1536                     // 000000002CE0: DBFE0600 4800002A
	ds_read_b128 a[76:79], v42 offset:1600                     // 000000002CE8: DBFE0640 4C00002A
	s_mov_b32 s50, 0                                           // 000000002CF0: BEB20080
	s_mov_b32 s51, 1.0                                         // 000000002CF4: BEB300F2
	s_cmp_eq_u32 s50, s75                                      // 000000002CF8: BF064B32
	s_cselect_b32 s50, s51, 0                                  // 000000002CFC: 85328033
	v_mul_f32_e64 v12, v12, s50                                // 000000002D00: D105000C 0000650C
	v_mul_f32_e64 v13, v13, s50                                // 000000002D08: D105000D 0000650D
	v_mul_f32_e64 v14, v14, s50                                // 000000002D10: D105000E 0000650E
	v_mul_f32_e64 v15, v15, s50                                // 000000002D18: D105000F 0000650F
	v_mul_f32_e64 v16, v16, s50                                // 000000002D20: D1050010 00006510
	v_mul_f32_e64 v17, v17, s50                                // 000000002D28: D1050011 00006511
	v_mul_f32_e64 v18, v18, s50                                // 000000002D30: D1050012 00006512
	v_mul_f32_e64 v19, v19, s50                                // 000000002D38: D1050013 00006513
	v_and_b32_e64 v20, v0, 15                                  // 000000002D40: D1130014 00011F00
	v_mul_lo_u32 v20, v20, s37                                 // 000000002D48: D2850014 00004B14
	v_lshrrev_b32_e32 v4, 4, v0                                // 000000002D50: 20080084
	v_mul_i32_i24_e32 v4, 8, v4                                // 000000002D54: 0C080888
	v_add_u32_e32 v20, v4, v20                                 // 000000002D58: 68282904
	s_mul_i32 s50, 32, s47                                     // 000000002D5C: 92322FA0
	s_mul_i32 s50, 2, s50                                      // 000000002D60: 92323282
	v_add_u32_e32 v20, s50, v20                                // 000000002D64: 68282832
	s_mul_i32 s50, 16, s37                                     // 000000002D68: 92322590
	v_add_u32_e32 v21, s50, v20                                // 000000002D6C: 682A2832
	v_add_u32_e32 v22, s50, v21                                // 000000002D70: 682C2A32
	v_add_u32_e32 v23, s50, v22                                // 000000002D74: 682E2C32
	s_mul_i32 s50, s47, s37                                    // 000000002D78: 9232252F
	v_lshlrev_b32_e32 v5, 2, v0                                // 000000002D7C: 240A0082
	v_add_u32_e32 v24, s50, v5                                 // 000000002D80: 68300A32
	s_mul_i32 s50, s45, 64                                     // 000000002D84: 9232C02D
	s_add_i32 s77, s50, s47                                    // 000000002D88: 814D2F32
	s_cmp_lt_i32 s42, s43                                      // 000000002D8C: BF042B2A
	s_cbranch_scc0 label_075C                                  // 000000002D90: BF8404B7

0000000000002d94 <label_02A5>:
	s_waitcnt vmcnt(16) lgkmcnt(0)                             // 000000002D94: BF8C4070
	s_barrier                                                  // 000000002D98: BF8A0000
	v_mfma_f32_16x16x32_fp8_fp8 v[44:47], a[0:1], a[48:49], 0  // 000000002D9C: D3F3002C 1A026100
	s_add_u32 m0, 0, s58                                       // 000000002DA4: 807C3A80
	buffer_load_dword v34, s[4:7], 0 offen lds                 // 000000002DA8: E0511000 80010022
	v_mfma_f32_16x16x32_fp8_fp8 v[44:47], a[2:3], a[50:51], v[44:47]// 000000002DB0: D3F3002C 1CB26502
	ds_read_b128 a[80:83], v42 offset:8320                     // 000000002DB8: DBFE2080 5000002A
	v_mfma_f32_16x16x32_fp8_fp8 v[44:47], a[4:5], a[52:53], v[44:47]// 000000002DC0: D3F3002C 1CB26904
	s_add_u32 m0, 0x100, s58                                   // 000000002DC8: 807C3AFF 00000100
	buffer_load_dword v35, s[4:7], 0 offen lds                 // 000000002DD0: E0511000 80010023
	v_mfma_f32_16x16x32_fp8_fp8 v[44:47], a[6:7], a[54:55], v[44:47]// 000000002DD8: D3F3002C 1CB26D06
	ds_read_b128 a[84:87], v42 offset:8384                     // 000000002DE0: DBFE20C0 5400002A
	v_mul_f32_e32 v4, v132, v108                               // 000000002DE8: 0A08D984
	v_mov_b32_e32 v5, v4                                       // 000000002DEC: 7E0A0304
	v_mfma_f32_16x16x32_fp8_fp8 v[48:51], a[8:9], a[48:49], 0  // 000000002DF0: D3F30030 1A026108
	buffer_load_dwordx4 a[32:35], v30, s[8:11], 0 offen        // 000000002DF8: E05C1000 8082201E
	v_mfma_f32_16x16x32_fp8_fp8 v[48:51], a[10:11], a[50:51], v[48:51]// 000000002E00: D3F30030 1CC2650A
	buffer_load_dword v108, v135, s[20:23], 0 offen            // 000000002E08: E0501000 80056C87
	v_mfma_f32_16x16x32_fp8_fp8 v[48:51], a[12:13], a[52:53], v[48:51]// 000000002E10: D3F30030 1CC2690C
	buffer_load_dwordx4 a[36:39], v31, s[8:11], 0 offen        // 000000002E18: E05C1000 8082241F
	v_mfma_f32_16x16x32_fp8_fp8 v[48:51], a[14:15], a[54:55], v[48:51]// 000000002E20: D3F30030 1CC26D0E
	v_pk_fma_f32 v[76:77], v[4:5], v[44:45], v[76:77]          // 000000002E28: D3B0404C 1D325904
	v_pk_fma_f32 v[78:79], v[4:5], v[46:47], v[78:79]          // 000000002E30: D3B0404E 1D3A5D04
	v_pk_fma_f32 v[80:81], v[4:5], v[48:49], v[80:81]          // 000000002E38: D3B04050 1D426104
	v_pk_fma_f32 v[82:83], v[4:5], v[50:51], v[82:83]          // 000000002E40: D3B04052 1D4A6504
	v_mfma_f32_16x16x32_fp8_fp8 v[52:55], a[0:1], a[56:57], 0  // 000000002E48: D3F30034 1A027100
	s_add_u32 m0, 0x200, s58                                   // 000000002E50: 807C3AFF 00000200
	buffer_load_dword v36, s[4:7], 0 offen lds                 // 000000002E58: E0511000 80010024
	v_mfma_f32_16x16x32_fp8_fp8 v[52:55], a[2:3], a[58:59], v[52:55]// 000000002E60: D3F30034 1CD27502
	ds_read_b128 a[88:91], v42 offset:8832                     // 000000002E68: DBFE2280 5800002A
	v_mfma_f32_16x16x32_fp8_fp8 v[52:55], a[4:5], a[60:61], v[52:55]// 000000002E70: D3F30034 1CD27904
	s_add_u32 m0, 0x300, s58                                   // 000000002E78: 807C3AFF 00000300
	buffer_load_dword v37, s[4:7], 0 offen lds                 // 000000002E80: E0511000 80010025
	v_mfma_f32_16x16x32_fp8_fp8 v[52:55], a[6:7], a[62:63], v[52:55]// 000000002E88: D3F30034 1CD27D06
	ds_read_b128 a[92:95], v42 offset:8896                     // 000000002E90: DBFE22C0 5C00002A
	v_mul_f32_e32 v4, v132, v109                               // 000000002E98: 0A08DB84
	v_mov_b32_e32 v5, v4                                       // 000000002E9C: 7E0A0304
	v_mfma_f32_16x16x32_fp8_fp8 v[56:59], a[8:9], a[56:57], 0  // 000000002EA0: D3F30038 1A027108
	buffer_load_dwordx4 a[40:43], v32, s[8:11], 0 offen        // 000000002EA8: E05C1000 80822820
	v_mfma_f32_16x16x32_fp8_fp8 v[56:59], a[10:11], a[58:59], v[56:59]// 000000002EB0: D3F30038 1CE2750A
	buffer_load_dword v109, v136, s[20:23], 0 offen            // 000000002EB8: E0501000 80056D88
	v_mfma_f32_16x16x32_fp8_fp8 v[56:59], a[12:13], a[60:61], v[56:59]// 000000002EC0: D3F30038 1CE2790C
	buffer_load_dwordx4 a[44:47], v33, s[8:11], 0 offen        // 000000002EC8: E05C1000 80822C21
	v_mfma_f32_16x16x32_fp8_fp8 v[56:59], a[14:15], a[62:63], v[56:59]// 000000002ED0: D3F30038 1CE27D0E
	v_pk_fma_f32 v[84:85], v[4:5], v[52:53], v[84:85]          // 000000002ED8: D3B04054 1D526904
	v_pk_fma_f32 v[86:87], v[4:5], v[54:55], v[86:87]          // 000000002EE0: D3B04056 1D5A6D04
	v_pk_fma_f32 v[88:89], v[4:5], v[56:57], v[88:89]          // 000000002EE8: D3B04058 1D627104
	v_pk_fma_f32 v[90:91], v[4:5], v[58:59], v[90:91]          // 000000002EF0: D3B0405A 1D6A7504
	v_mfma_f32_16x16x32_fp8_fp8 v[60:63], a[0:1], a[64:65], 0  // 000000002EF8: D3F3003C 1A028100
	s_add_u32 m0, 0x400, s58                                   // 000000002F00: 807C3AFF 00000400
	buffer_load_dword v38, s[4:7], 0 offen lds                 // 000000002F08: E0511000 80010026
	v_mfma_f32_16x16x32_fp8_fp8 v[60:63], a[2:3], a[66:67], v[60:63]// 000000002F10: D3F3003C 1CF28502
	ds_read_b128 a[96:99], v42 offset:9344                     // 000000002F18: DBFE2480 6000002A
	v_mfma_f32_16x16x32_fp8_fp8 v[60:63], a[4:5], a[68:69], v[60:63]// 000000002F20: D3F3003C 1CF28904
	s_add_u32 m0, 0x500, s58                                   // 000000002F28: 807C3AFF 00000500
	buffer_load_dword v39, s[4:7], 0 offen lds                 // 000000002F30: E0511000 80010027
	v_mfma_f32_16x16x32_fp8_fp8 v[60:63], a[6:7], a[70:71], v[60:63]// 000000002F38: D3F3003C 1CF28D06
	ds_read_b128 a[100:103], v42 offset:9408                   // 000000002F40: DBFE24C0 6400002A
	v_mul_f32_e32 v4, v132, v110                               // 000000002F48: 0A08DD84
	v_mov_b32_e32 v5, v4                                       // 000000002F4C: 7E0A0304
	v_mfma_f32_16x16x32_fp8_fp8 v[64:67], a[8:9], a[64:65], 0  // 000000002F50: D3F30040 1A028108
	v_mfma_f32_16x16x32_fp8_fp8 v[64:67], a[10:11], a[66:67], v[64:67]// 000000002F58: D3F30040 1D02850A
	buffer_load_dword v110, v137, s[20:23], 0 offen            // 000000002F60: E0501000 80056E89
	v_mfma_f32_16x16x32_fp8_fp8 v[64:67], a[12:13], a[68:69], v[64:67]// 000000002F68: D3F30040 1D02890C
	v_mfma_f32_16x16x32_fp8_fp8 v[64:67], a[14:15], a[70:71], v[64:67]// 000000002F70: D3F30040 1D028D0E
	v_pk_fma_f32 v[92:93], v[4:5], v[60:61], v[92:93]          // 000000002F78: D3B0405C 1D727904
	v_pk_fma_f32 v[94:95], v[4:5], v[62:63], v[94:95]          // 000000002F80: D3B0405E 1D7A7D04
	v_pk_fma_f32 v[96:97], v[4:5], v[64:65], v[96:97]          // 000000002F88: D3B04060 1D828104
	v_pk_fma_f32 v[98:99], v[4:5], v[66:67], v[98:99]          // 000000002F90: D3B04062 1D8A8504
	v_mfma_f32_16x16x32_fp8_fp8 v[68:71], a[0:1], a[72:73], 0  // 000000002F98: D3F30044 1A029100
	s_add_u32 m0, 0x600, s58                                   // 000000002FA0: 807C3AFF 00000600
	buffer_load_dword v40, s[4:7], 0 offen lds                 // 000000002FA8: E0511000 80010028
	v_mfma_f32_16x16x32_fp8_fp8 v[68:71], a[2:3], a[74:75], v[68:71]// 000000002FB0: D3F30044 1D129502
	ds_read_b128 a[104:107], v42 offset:9856                   // 000000002FB8: DBFE2680 6800002A
	v_mfma_f32_16x16x32_fp8_fp8 v[68:71], a[4:5], a[76:77], v[68:71]// 000000002FC0: D3F30044 1D129904
	s_add_u32 m0, 0x700, s58                                   // 000000002FC8: 807C3AFF 00000700
	buffer_load_dword v41, s[4:7], 0 offen lds                 // 000000002FD0: E0511000 80010029
	v_mfma_f32_16x16x32_fp8_fp8 v[68:71], a[6:7], a[78:79], v[68:71]// 000000002FD8: D3F30044 1D129D06
	ds_read_b128 a[108:111], v42 offset:9920                   // 000000002FE0: DBFE26C0 6C00002A
	v_mul_f32_e32 v4, v132, v111                               // 000000002FE8: 0A08DF84
	v_mov_b32_e32 v5, v4                                       // 000000002FEC: 7E0A0304
	v_mfma_f32_16x16x32_fp8_fp8 v[72:75], a[8:9], a[72:73], 0  // 000000002FF0: D3F30048 1A029108
	v_mfma_f32_16x16x32_fp8_fp8 v[72:75], a[10:11], a[74:75], v[72:75]// 000000002FF8: D3F30048 1D22950A
	buffer_load_dword v111, v138, s[20:23], 0 offen            // 000000003000: E0501000 80056F8A
	s_add_u32 s50, 0x200, s42                                  // 000000003008: 80322AFF 00000200
	s_cmp_lt_u32 s50, s43                                      // 000000003010: BF0A2B32
	s_cselect_b32 s54, s54, 0                                  // 000000003014: 85368036
	s_add_u32 s50, 0x180, s42                                  // 000000003018: 80322AFF 00000180
	s_cmp_lt_u32 s50, s43                                      // 000000003020: BF0A2B32
	s_cselect_b32 s55, s55, 0                                  // 000000003024: 85378037
	;; [unrolled: 3-line block ×4, first 2 shown]
	v_mfma_f32_16x16x32_fp8_fp8 v[72:75], a[12:13], a[76:77], v[72:75]// 000000003048: D3F30048 1D22990C
	v_mfma_f32_16x16x32_fp8_fp8 v[72:75], a[14:15], a[78:79], v[72:75]// 000000003050: D3F30048 1D229D0E
	buffer_load_dword v134, v143, s[24:27], 0 offen            // 000000003058: E0501000 8006868F
	s_add_u32 s4, s54, s4                                      // 000000003060: 80040436
	s_addc_u32 s5, 0, s5                                       // 000000003064: 82050580
	s_sub_u32 s6, s6, s54                                      // 000000003068: 80863606
	s_add_u32 s8, s55, s8                                      // 00000000306C: 80080837
	s_addc_u32 s9, 0, s9                                       // 000000003070: 82090980
	s_sub_u32 s10, s10, s55                                    // 000000003074: 808A370A
	s_add_u32 s20, s56, s20                                    // 000000003078: 80141438
	s_addc_u32 s21, 0, s21                                     // 00000000307C: 82151580
	s_add_u32 s24, s57, s24                                    // 000000003080: 80181839
	s_addc_u32 s25, 0, s25                                     // 000000003084: 82191980
	s_sub_u32 s26, s26, s57                                    // 000000003088: 809A391A
	v_pk_fma_f32 v[100:101], v[4:5], v[68:69], v[100:101]      // 00000000308C: D3B04064 1D928904
	v_pk_fma_f32 v[102:103], v[4:5], v[70:71], v[102:103]      // 000000003094: D3B04066 1D9A8D04
	v_pk_fma_f32 v[104:105], v[4:5], v[72:73], v[104:105]      // 00000000309C: D3B04068 1DA29104
	v_pk_fma_f32 v[106:107], v[4:5], v[74:75], v[106:107]      // 0000000030A4: D3B0406A 1DAA9504
	s_addk_i32 s42, 0x80                                       // 0000000030AC: B72A0080
	s_cmp_lt_i32 s42, s43                                      // 0000000030B0: BF042B2A
	s_cbranch_scc0 label_075C                                  // 0000000030B4: BF8403EE
	s_waitcnt vmcnt(16) lgkmcnt(0)                             // 0000000030B8: BF8C4070
	s_barrier                                                  // 0000000030BC: BF8A0000
	v_mfma_f32_16x16x32_fp8_fp8 v[44:47], a[16:17], a[80:81], 0// 0000000030C0: D3F3002C 1A02A110
	s_add_u32 m0, 0, s59                                       // 0000000030C8: 807C3B80
	buffer_load_dword v34, s[4:7], 0 offen lds                 // 0000000030CC: E0511000 80010022
	v_mfma_f32_16x16x32_fp8_fp8 v[44:47], a[18:19], a[82:83], v[44:47]// 0000000030D4: D3F3002C 1CB2A512
	ds_read_b128 a[48:51], v42 offset:16640                    // 0000000030DC: DBFE4100 3000002A
	v_mfma_f32_16x16x32_fp8_fp8 v[44:47], a[20:21], a[84:85], v[44:47]// 0000000030E4: D3F3002C 1CB2A914
	s_add_u32 m0, 0x100, s59                                   // 0000000030EC: 807C3BFF 00000100
	buffer_load_dword v35, s[4:7], 0 offen lds                 // 0000000030F4: E0511000 80010023
	v_mfma_f32_16x16x32_fp8_fp8 v[44:47], a[22:23], a[86:87], v[44:47]// 0000000030FC: D3F3002C 1CB2AD16
	ds_read_b128 a[52:55], v42 offset:16704                    // 000000003104: DBFE4140 3400002A
	v_mul_f32_e32 v4, v133, v112                               // 00000000310C: 0A08E185
	v_mov_b32_e32 v5, v4                                       // 000000003110: 7E0A0304
	v_mfma_f32_16x16x32_fp8_fp8 v[48:51], a[24:25], a[80:81], 0// 000000003114: D3F30030 1A02A118
	buffer_load_dwordx4 a[0:3], v30, s[8:11], 0 offen          // 00000000311C: E05C1000 8082001E
	v_mfma_f32_16x16x32_fp8_fp8 v[48:51], a[26:27], a[82:83], v[48:51]// 000000003124: D3F30030 1CC2A51A
	buffer_load_dword v112, v135, s[20:23], 0 offen            // 00000000312C: E0501000 80057087
	v_mfma_f32_16x16x32_fp8_fp8 v[48:51], a[28:29], a[84:85], v[48:51]// 000000003134: D3F30030 1CC2A91C
	buffer_load_dwordx4 a[4:7], v31, s[8:11], 0 offen          // 00000000313C: E05C1000 8082041F
	v_mfma_f32_16x16x32_fp8_fp8 v[48:51], a[30:31], a[86:87], v[48:51]// 000000003144: D3F30030 1CC2AD1E
	v_pk_fma_f32 v[76:77], v[4:5], v[44:45], v[76:77]          // 00000000314C: D3B0404C 1D325904
	v_pk_fma_f32 v[78:79], v[4:5], v[46:47], v[78:79]          // 000000003154: D3B0404E 1D3A5D04
	v_pk_fma_f32 v[80:81], v[4:5], v[48:49], v[80:81]          // 00000000315C: D3B04050 1D426104
	v_pk_fma_f32 v[82:83], v[4:5], v[50:51], v[82:83]          // 000000003164: D3B04052 1D4A6504
	v_mfma_f32_16x16x32_fp8_fp8 v[52:55], a[16:17], a[88:89], 0// 00000000316C: D3F30034 1A02B110
	s_add_u32 m0, 0x200, s59                                   // 000000003174: 807C3BFF 00000200
	buffer_load_dword v36, s[4:7], 0 offen lds                 // 00000000317C: E0511000 80010024
	v_mfma_f32_16x16x32_fp8_fp8 v[52:55], a[18:19], a[90:91], v[52:55]// 000000003184: D3F30034 1CD2B512
	ds_read_b128 a[56:59], v42 offset:17152                    // 00000000318C: DBFE4300 3800002A
	v_mfma_f32_16x16x32_fp8_fp8 v[52:55], a[20:21], a[92:93], v[52:55]// 000000003194: D3F30034 1CD2B914
	s_add_u32 m0, 0x300, s59                                   // 00000000319C: 807C3BFF 00000300
	buffer_load_dword v37, s[4:7], 0 offen lds                 // 0000000031A4: E0511000 80010025
	v_mfma_f32_16x16x32_fp8_fp8 v[52:55], a[22:23], a[94:95], v[52:55]// 0000000031AC: D3F30034 1CD2BD16
	ds_read_b128 a[60:63], v42 offset:17216                    // 0000000031B4: DBFE4340 3C00002A
	v_mul_f32_e32 v4, v133, v113                               // 0000000031BC: 0A08E385
	v_mov_b32_e32 v5, v4                                       // 0000000031C0: 7E0A0304
	v_mfma_f32_16x16x32_fp8_fp8 v[56:59], a[24:25], a[88:89], 0// 0000000031C4: D3F30038 1A02B118
	buffer_load_dwordx4 a[8:11], v32, s[8:11], 0 offen         // 0000000031CC: E05C1000 80820820
	v_mfma_f32_16x16x32_fp8_fp8 v[56:59], a[26:27], a[90:91], v[56:59]// 0000000031D4: D3F30038 1CE2B51A
	buffer_load_dword v113, v136, s[20:23], 0 offen            // 0000000031DC: E0501000 80057188
	v_mfma_f32_16x16x32_fp8_fp8 v[56:59], a[28:29], a[92:93], v[56:59]// 0000000031E4: D3F30038 1CE2B91C
	buffer_load_dwordx4 a[12:15], v33, s[8:11], 0 offen        // 0000000031EC: E05C1000 80820C21
	v_mfma_f32_16x16x32_fp8_fp8 v[56:59], a[30:31], a[94:95], v[56:59]// 0000000031F4: D3F30038 1CE2BD1E
	v_pk_fma_f32 v[84:85], v[4:5], v[52:53], v[84:85]          // 0000000031FC: D3B04054 1D526904
	v_pk_fma_f32 v[86:87], v[4:5], v[54:55], v[86:87]          // 000000003204: D3B04056 1D5A6D04
	v_pk_fma_f32 v[88:89], v[4:5], v[56:57], v[88:89]          // 00000000320C: D3B04058 1D627104
	v_pk_fma_f32 v[90:91], v[4:5], v[58:59], v[90:91]          // 000000003214: D3B0405A 1D6A7504
	v_mfma_f32_16x16x32_fp8_fp8 v[60:63], a[16:17], a[96:97], 0// 00000000321C: D3F3003C 1A02C110
	s_add_u32 m0, 0x400, s59                                   // 000000003224: 807C3BFF 00000400
	buffer_load_dword v38, s[4:7], 0 offen lds                 // 00000000322C: E0511000 80010026
	v_mfma_f32_16x16x32_fp8_fp8 v[60:63], a[18:19], a[98:99], v[60:63]// 000000003234: D3F3003C 1CF2C512
	ds_read_b128 a[64:67], v42 offset:17664                    // 00000000323C: DBFE4500 4000002A
	v_mfma_f32_16x16x32_fp8_fp8 v[60:63], a[20:21], a[100:101], v[60:63]// 000000003244: D3F3003C 1CF2C914
	s_add_u32 m0, 0x500, s59                                   // 00000000324C: 807C3BFF 00000500
	buffer_load_dword v39, s[4:7], 0 offen lds                 // 000000003254: E0511000 80010027
	v_mfma_f32_16x16x32_fp8_fp8 v[60:63], a[22:23], a[102:103], v[60:63]// 00000000325C: D3F3003C 1CF2CD16
	ds_read_b128 a[68:71], v42 offset:17728                    // 000000003264: DBFE4540 4400002A
	v_mul_f32_e32 v4, v133, v114                               // 00000000326C: 0A08E585
	v_mov_b32_e32 v5, v4                                       // 000000003270: 7E0A0304
	v_mfma_f32_16x16x32_fp8_fp8 v[64:67], a[24:25], a[96:97], 0// 000000003274: D3F30040 1A02C118
	v_mfma_f32_16x16x32_fp8_fp8 v[64:67], a[26:27], a[98:99], v[64:67]// 00000000327C: D3F30040 1D02C51A
	buffer_load_dword v114, v137, s[20:23], 0 offen            // 000000003284: E0501000 80057289
	v_mfma_f32_16x16x32_fp8_fp8 v[64:67], a[28:29], a[100:101], v[64:67]// 00000000328C: D3F30040 1D02C91C
	v_mfma_f32_16x16x32_fp8_fp8 v[64:67], a[30:31], a[102:103], v[64:67]// 000000003294: D3F30040 1D02CD1E
	v_pk_fma_f32 v[92:93], v[4:5], v[60:61], v[92:93]          // 00000000329C: D3B0405C 1D727904
	v_pk_fma_f32 v[94:95], v[4:5], v[62:63], v[94:95]          // 0000000032A4: D3B0405E 1D7A7D04
	v_pk_fma_f32 v[96:97], v[4:5], v[64:65], v[96:97]          // 0000000032AC: D3B04060 1D828104
	v_pk_fma_f32 v[98:99], v[4:5], v[66:67], v[98:99]          // 0000000032B4: D3B04062 1D8A8504
	v_mfma_f32_16x16x32_fp8_fp8 v[68:71], a[16:17], a[104:105], 0// 0000000032BC: D3F30044 1A02D110
	s_add_u32 m0, 0x600, s59                                   // 0000000032C4: 807C3BFF 00000600
	buffer_load_dword v40, s[4:7], 0 offen lds                 // 0000000032CC: E0511000 80010028
	v_mfma_f32_16x16x32_fp8_fp8 v[68:71], a[18:19], a[106:107], v[68:71]// 0000000032D4: D3F30044 1D12D512
	ds_read_b128 a[72:75], v42 offset:18176                    // 0000000032DC: DBFE4700 4800002A
	v_mfma_f32_16x16x32_fp8_fp8 v[68:71], a[20:21], a[108:109], v[68:71]// 0000000032E4: D3F30044 1D12D914
	s_add_u32 m0, 0x700, s59                                   // 0000000032EC: 807C3BFF 00000700
	buffer_load_dword v41, s[4:7], 0 offen lds                 // 0000000032F4: E0511000 80010029
	v_mfma_f32_16x16x32_fp8_fp8 v[68:71], a[22:23], a[110:111], v[68:71]// 0000000032FC: D3F30044 1D12DD16
	ds_read_b128 a[76:79], v42 offset:18240                    // 000000003304: DBFE4740 4C00002A
	v_mul_f32_e32 v4, v133, v115                               // 00000000330C: 0A08E785
	v_mov_b32_e32 v5, v4                                       // 000000003310: 7E0A0304
	v_mfma_f32_16x16x32_fp8_fp8 v[72:75], a[24:25], a[104:105], 0// 000000003314: D3F30048 1A02D118
	v_mfma_f32_16x16x32_fp8_fp8 v[72:75], a[26:27], a[106:107], v[72:75]// 00000000331C: D3F30048 1D22D51A
	buffer_load_dword v115, v138, s[20:23], 0 offen            // 000000003324: E0501000 8005738A
	s_add_u32 s50, 0x200, s42                                  // 00000000332C: 80322AFF 00000200
	s_cmp_lt_u32 s50, s43                                      // 000000003334: BF0A2B32
	s_cselect_b32 s54, s54, 0                                  // 000000003338: 85368036
	s_add_u32 s50, 0x180, s42                                  // 00000000333C: 80322AFF 00000180
	s_cmp_lt_u32 s50, s43                                      // 000000003344: BF0A2B32
	s_cselect_b32 s55, s55, 0                                  // 000000003348: 85378037
	s_add_u32 s50, 0x200, s42                                  // 00000000334C: 80322AFF 00000200
	s_cmp_lt_u32 s50, s43                                      // 000000003354: BF0A2B32
	s_cselect_b32 s56, s56, 0                                  // 000000003358: 85388038
	s_add_u32 s50, 0x180, s42                                  // 00000000335C: 80322AFF 00000180
	s_cmp_lt_u32 s50, s43                                      // 000000003364: BF0A2B32
	s_cselect_b32 s57, s57, 0                                  // 000000003368: 85398039
	v_mfma_f32_16x16x32_fp8_fp8 v[72:75], a[28:29], a[108:109], v[72:75]// 00000000336C: D3F30048 1D22D91C
	v_mfma_f32_16x16x32_fp8_fp8 v[72:75], a[30:31], a[110:111], v[72:75]// 000000003374: D3F30048 1D22DD1E
	buffer_load_dword v132, v143, s[24:27], 0 offen            // 00000000337C: E0501000 8006848F
	s_add_u32 s4, s54, s4                                      // 000000003384: 80040436
	s_addc_u32 s5, 0, s5                                       // 000000003388: 82050580
	s_sub_u32 s6, s6, s54                                      // 00000000338C: 80863606
	s_add_u32 s8, s55, s8                                      // 000000003390: 80080837
	s_addc_u32 s9, 0, s9                                       // 000000003394: 82090980
	s_sub_u32 s10, s10, s55                                    // 000000003398: 808A370A
	s_add_u32 s20, s56, s20                                    // 00000000339C: 80141438
	s_addc_u32 s21, 0, s21                                     // 0000000033A0: 82151580
	s_add_u32 s24, s57, s24                                    // 0000000033A4: 80181839
	s_addc_u32 s25, 0, s25                                     // 0000000033A8: 82191980
	s_sub_u32 s26, s26, s57                                    // 0000000033AC: 809A391A
	v_pk_fma_f32 v[100:101], v[4:5], v[68:69], v[100:101]      // 0000000033B0: D3B04064 1D928904
	v_pk_fma_f32 v[102:103], v[4:5], v[70:71], v[102:103]      // 0000000033B8: D3B04066 1D9A8D04
	v_pk_fma_f32 v[104:105], v[4:5], v[72:73], v[104:105]      // 0000000033C0: D3B04068 1DA29104
	v_pk_fma_f32 v[106:107], v[4:5], v[74:75], v[106:107]      // 0000000033C8: D3B0406A 1DAA9504
	s_addk_i32 s42, 0x80                                       // 0000000033D0: B72A0080
	s_cmp_lt_i32 s42, s43                                      // 0000000033D4: BF042B2A
	s_cbranch_scc0 label_075C                                  // 0000000033D8: BF840325
	s_waitcnt vmcnt(16) lgkmcnt(0)                             // 0000000033DC: BF8C4070
	s_barrier                                                  // 0000000033E0: BF8A0000
	v_mfma_f32_16x16x32_fp8_fp8 v[44:47], a[32:33], a[48:49], 0// 0000000033E4: D3F3002C 1A026120
	s_add_u32 m0, 0, s60                                       // 0000000033EC: 807C3C80
	buffer_load_dword v34, s[4:7], 0 offen lds                 // 0000000033F0: E0511000 80010022
	v_mfma_f32_16x16x32_fp8_fp8 v[44:47], a[34:35], a[50:51], v[44:47]// 0000000033F8: D3F3002C 1CB26522
	ds_read_b128 a[80:83], v42                                 // 000000003400: DBFE0000 5000002A
	v_mfma_f32_16x16x32_fp8_fp8 v[44:47], a[36:37], a[52:53], v[44:47]// 000000003408: D3F3002C 1CB26924
	s_add_u32 m0, 0x100, s60                                   // 000000003410: 807C3CFF 00000100
	buffer_load_dword v35, s[4:7], 0 offen lds                 // 000000003418: E0511000 80010023
	v_mfma_f32_16x16x32_fp8_fp8 v[44:47], a[38:39], a[54:55], v[44:47]// 000000003420: D3F3002C 1CB26D26
	ds_read_b128 a[84:87], v42 offset:64                       // 000000003428: DBFE0040 5400002A
	v_mul_f32_e32 v4, v134, v116                               // 000000003430: 0A08E986
	v_mov_b32_e32 v5, v4                                       // 000000003434: 7E0A0304
	v_mfma_f32_16x16x32_fp8_fp8 v[48:51], a[40:41], a[48:49], 0// 000000003438: D3F30030 1A026128
	buffer_load_dwordx4 a[16:19], v30, s[8:11], 0 offen        // 000000003440: E05C1000 8082101E
	v_mfma_f32_16x16x32_fp8_fp8 v[48:51], a[42:43], a[50:51], v[48:51]// 000000003448: D3F30030 1CC2652A
	buffer_load_dword v116, v135, s[20:23], 0 offen            // 000000003450: E0501000 80057487
	v_mfma_f32_16x16x32_fp8_fp8 v[48:51], a[44:45], a[52:53], v[48:51]// 000000003458: D3F30030 1CC2692C
	buffer_load_dwordx4 a[20:23], v31, s[8:11], 0 offen        // 000000003460: E05C1000 8082141F
	v_mfma_f32_16x16x32_fp8_fp8 v[48:51], a[46:47], a[54:55], v[48:51]// 000000003468: D3F30030 1CC26D2E
	v_pk_fma_f32 v[76:77], v[4:5], v[44:45], v[76:77]          // 000000003470: D3B0404C 1D325904
	v_pk_fma_f32 v[78:79], v[4:5], v[46:47], v[78:79]          // 000000003478: D3B0404E 1D3A5D04
	v_pk_fma_f32 v[80:81], v[4:5], v[48:49], v[80:81]          // 000000003480: D3B04050 1D426104
	v_pk_fma_f32 v[82:83], v[4:5], v[50:51], v[82:83]          // 000000003488: D3B04052 1D4A6504
	v_mfma_f32_16x16x32_fp8_fp8 v[52:55], a[32:33], a[56:57], 0// 000000003490: D3F30034 1A027120
	s_add_u32 m0, 0x200, s60                                   // 000000003498: 807C3CFF 00000200
	buffer_load_dword v36, s[4:7], 0 offen lds                 // 0000000034A0: E0511000 80010024
	v_mfma_f32_16x16x32_fp8_fp8 v[52:55], a[34:35], a[58:59], v[52:55]// 0000000034A8: D3F30034 1CD27522
	ds_read_b128 a[88:91], v42 offset:512                      // 0000000034B0: DBFE0200 5800002A
	v_mfma_f32_16x16x32_fp8_fp8 v[52:55], a[36:37], a[60:61], v[52:55]// 0000000034B8: D3F30034 1CD27924
	s_add_u32 m0, 0x300, s60                                   // 0000000034C0: 807C3CFF 00000300
	buffer_load_dword v37, s[4:7], 0 offen lds                 // 0000000034C8: E0511000 80010025
	v_mfma_f32_16x16x32_fp8_fp8 v[52:55], a[38:39], a[62:63], v[52:55]// 0000000034D0: D3F30034 1CD27D26
	ds_read_b128 a[92:95], v42 offset:576                      // 0000000034D8: DBFE0240 5C00002A
	v_mul_f32_e32 v4, v134, v117                               // 0000000034E0: 0A08EB86
	v_mov_b32_e32 v5, v4                                       // 0000000034E4: 7E0A0304
	v_mfma_f32_16x16x32_fp8_fp8 v[56:59], a[40:41], a[56:57], 0// 0000000034E8: D3F30038 1A027128
	buffer_load_dwordx4 a[24:27], v32, s[8:11], 0 offen        // 0000000034F0: E05C1000 80821820
	v_mfma_f32_16x16x32_fp8_fp8 v[56:59], a[42:43], a[58:59], v[56:59]// 0000000034F8: D3F30038 1CE2752A
	buffer_load_dword v117, v136, s[20:23], 0 offen            // 000000003500: E0501000 80057588
	v_mfma_f32_16x16x32_fp8_fp8 v[56:59], a[44:45], a[60:61], v[56:59]// 000000003508: D3F30038 1CE2792C
	buffer_load_dwordx4 a[28:31], v33, s[8:11], 0 offen        // 000000003510: E05C1000 80821C21
	v_mfma_f32_16x16x32_fp8_fp8 v[56:59], a[46:47], a[62:63], v[56:59]// 000000003518: D3F30038 1CE27D2E
	v_pk_fma_f32 v[84:85], v[4:5], v[52:53], v[84:85]          // 000000003520: D3B04054 1D526904
	v_pk_fma_f32 v[86:87], v[4:5], v[54:55], v[86:87]          // 000000003528: D3B04056 1D5A6D04
	v_pk_fma_f32 v[88:89], v[4:5], v[56:57], v[88:89]          // 000000003530: D3B04058 1D627104
	v_pk_fma_f32 v[90:91], v[4:5], v[58:59], v[90:91]          // 000000003538: D3B0405A 1D6A7504
	v_mfma_f32_16x16x32_fp8_fp8 v[60:63], a[32:33], a[64:65], 0// 000000003540: D3F3003C 1A028120
	s_add_u32 m0, 0x400, s60                                   // 000000003548: 807C3CFF 00000400
	buffer_load_dword v38, s[4:7], 0 offen lds                 // 000000003550: E0511000 80010026
	v_mfma_f32_16x16x32_fp8_fp8 v[60:63], a[34:35], a[66:67], v[60:63]// 000000003558: D3F3003C 1CF28522
	ds_read_b128 a[96:99], v42 offset:1024                     // 000000003560: DBFE0400 6000002A
	v_mfma_f32_16x16x32_fp8_fp8 v[60:63], a[36:37], a[68:69], v[60:63]// 000000003568: D3F3003C 1CF28924
	s_add_u32 m0, 0x500, s60                                   // 000000003570: 807C3CFF 00000500
	buffer_load_dword v39, s[4:7], 0 offen lds                 // 000000003578: E0511000 80010027
	v_mfma_f32_16x16x32_fp8_fp8 v[60:63], a[38:39], a[70:71], v[60:63]// 000000003580: D3F3003C 1CF28D26
	ds_read_b128 a[100:103], v42 offset:1088                   // 000000003588: DBFE0440 6400002A
	v_mul_f32_e32 v4, v134, v118                               // 000000003590: 0A08ED86
	v_mov_b32_e32 v5, v4                                       // 000000003594: 7E0A0304
	v_mfma_f32_16x16x32_fp8_fp8 v[64:67], a[40:41], a[64:65], 0// 000000003598: D3F30040 1A028128
	v_mfma_f32_16x16x32_fp8_fp8 v[64:67], a[42:43], a[66:67], v[64:67]// 0000000035A0: D3F30040 1D02852A
	buffer_load_dword v118, v137, s[20:23], 0 offen            // 0000000035A8: E0501000 80057689
	v_mfma_f32_16x16x32_fp8_fp8 v[64:67], a[44:45], a[68:69], v[64:67]// 0000000035B0: D3F30040 1D02892C
	v_mfma_f32_16x16x32_fp8_fp8 v[64:67], a[46:47], a[70:71], v[64:67]// 0000000035B8: D3F30040 1D028D2E
	v_pk_fma_f32 v[92:93], v[4:5], v[60:61], v[92:93]          // 0000000035C0: D3B0405C 1D727904
	v_pk_fma_f32 v[94:95], v[4:5], v[62:63], v[94:95]          // 0000000035C8: D3B0405E 1D7A7D04
	v_pk_fma_f32 v[96:97], v[4:5], v[64:65], v[96:97]          // 0000000035D0: D3B04060 1D828104
	v_pk_fma_f32 v[98:99], v[4:5], v[66:67], v[98:99]          // 0000000035D8: D3B04062 1D8A8504
	v_mfma_f32_16x16x32_fp8_fp8 v[68:71], a[32:33], a[72:73], 0// 0000000035E0: D3F30044 1A029120
	s_add_u32 m0, 0x600, s60                                   // 0000000035E8: 807C3CFF 00000600
	buffer_load_dword v40, s[4:7], 0 offen lds                 // 0000000035F0: E0511000 80010028
	v_mfma_f32_16x16x32_fp8_fp8 v[68:71], a[34:35], a[74:75], v[68:71]// 0000000035F8: D3F30044 1D129522
	ds_read_b128 a[104:107], v42 offset:1536                   // 000000003600: DBFE0600 6800002A
	v_mfma_f32_16x16x32_fp8_fp8 v[68:71], a[36:37], a[76:77], v[68:71]// 000000003608: D3F30044 1D129924
	s_add_u32 m0, 0x700, s60                                   // 000000003610: 807C3CFF 00000700
	buffer_load_dword v41, s[4:7], 0 offen lds                 // 000000003618: E0511000 80010029
	v_mfma_f32_16x16x32_fp8_fp8 v[68:71], a[38:39], a[78:79], v[68:71]// 000000003620: D3F30044 1D129D26
	ds_read_b128 a[108:111], v42 offset:1600                   // 000000003628: DBFE0640 6C00002A
	v_mul_f32_e32 v4, v134, v119                               // 000000003630: 0A08EF86
	v_mov_b32_e32 v5, v4                                       // 000000003634: 7E0A0304
	v_mfma_f32_16x16x32_fp8_fp8 v[72:75], a[40:41], a[72:73], 0// 000000003638: D3F30048 1A029128
	v_mfma_f32_16x16x32_fp8_fp8 v[72:75], a[42:43], a[74:75], v[72:75]// 000000003640: D3F30048 1D22952A
	buffer_load_dword v119, v138, s[20:23], 0 offen            // 000000003648: E0501000 8005778A
	s_add_u32 s50, 0x200, s42                                  // 000000003650: 80322AFF 00000200
	s_cmp_lt_u32 s50, s43                                      // 000000003658: BF0A2B32
	s_cselect_b32 s54, s54, 0                                  // 00000000365C: 85368036
	s_add_u32 s50, 0x180, s42                                  // 000000003660: 80322AFF 00000180
	s_cmp_lt_u32 s50, s43                                      // 000000003668: BF0A2B32
	s_cselect_b32 s55, s55, 0                                  // 00000000366C: 85378037
	s_add_u32 s50, 0x200, s42                                  // 000000003670: 80322AFF 00000200
	s_cmp_lt_u32 s50, s43                                      // 000000003678: BF0A2B32
	s_cselect_b32 s56, s56, 0                                  // 00000000367C: 85388038
	s_add_u32 s50, 0x180, s42                                  // 000000003680: 80322AFF 00000180
	s_cmp_lt_u32 s50, s43                                      // 000000003688: BF0A2B32
	s_cselect_b32 s57, s57, 0                                  // 00000000368C: 85398039
	v_mfma_f32_16x16x32_fp8_fp8 v[72:75], a[44:45], a[76:77], v[72:75]// 000000003690: D3F30048 1D22992C
	v_mfma_f32_16x16x32_fp8_fp8 v[72:75], a[46:47], a[78:79], v[72:75]// 000000003698: D3F30048 1D229D2E
	buffer_load_dword v133, v143, s[24:27], 0 offen            // 0000000036A0: E0501000 8006858F
	s_add_u32 s4, s54, s4                                      // 0000000036A8: 80040436
	s_addc_u32 s5, 0, s5                                       // 0000000036AC: 82050580
	s_sub_u32 s6, s6, s54                                      // 0000000036B0: 80863606
	s_add_u32 s8, s55, s8                                      // 0000000036B4: 80080837
	s_addc_u32 s9, 0, s9                                       // 0000000036B8: 82090980
	s_sub_u32 s10, s10, s55                                    // 0000000036BC: 808A370A
	s_add_u32 s20, s56, s20                                    // 0000000036C0: 80141438
	s_addc_u32 s21, 0, s21                                     // 0000000036C4: 82151580
	s_add_u32 s24, s57, s24                                    // 0000000036C8: 80181839
	s_addc_u32 s25, 0, s25                                     // 0000000036CC: 82191980
	s_sub_u32 s26, s26, s57                                    // 0000000036D0: 809A391A
	v_pk_fma_f32 v[100:101], v[4:5], v[68:69], v[100:101]      // 0000000036D4: D3B04064 1D928904
	v_pk_fma_f32 v[102:103], v[4:5], v[70:71], v[102:103]      // 0000000036DC: D3B04066 1D9A8D04
	v_pk_fma_f32 v[104:105], v[4:5], v[72:73], v[104:105]      // 0000000036E4: D3B04068 1DA29104
	v_pk_fma_f32 v[106:107], v[4:5], v[74:75], v[106:107]      // 0000000036EC: D3B0406A 1DAA9504
	s_addk_i32 s42, 0x80                                       // 0000000036F4: B72A0080
	s_cmp_lt_i32 s42, s43                                      // 0000000036F8: BF042B2A
	s_cbranch_scc0 label_075C                                  // 0000000036FC: BF84025C
	s_waitcnt vmcnt(16) lgkmcnt(0)                             // 000000003700: BF8C4070
	s_barrier                                                  // 000000003704: BF8A0000
	v_mfma_f32_16x16x32_fp8_fp8 v[44:47], a[0:1], a[80:81], 0  // 000000003708: D3F3002C 1A02A100
	s_add_u32 m0, 0, s58                                       // 000000003710: 807C3A80
	buffer_load_dword v34, s[4:7], 0 offen lds                 // 000000003714: E0511000 80010022
	v_mfma_f32_16x16x32_fp8_fp8 v[44:47], a[2:3], a[82:83], v[44:47]// 00000000371C: D3F3002C 1CB2A502
	ds_read_b128 a[48:51], v42 offset:8320                     // 000000003724: DBFE2080 3000002A
	v_mfma_f32_16x16x32_fp8_fp8 v[44:47], a[4:5], a[84:85], v[44:47]// 00000000372C: D3F3002C 1CB2A904
	s_add_u32 m0, 0x100, s58                                   // 000000003734: 807C3AFF 00000100
	buffer_load_dword v35, s[4:7], 0 offen lds                 // 00000000373C: E0511000 80010023
	v_mfma_f32_16x16x32_fp8_fp8 v[44:47], a[6:7], a[86:87], v[44:47]// 000000003744: D3F3002C 1CB2AD06
	ds_read_b128 a[52:55], v42 offset:8384                     // 00000000374C: DBFE20C0 3400002A
	v_mul_f32_e32 v4, v132, v108                               // 000000003754: 0A08D984
	v_mov_b32_e32 v5, v4                                       // 000000003758: 7E0A0304
	v_mfma_f32_16x16x32_fp8_fp8 v[48:51], a[8:9], a[80:81], 0  // 00000000375C: D3F30030 1A02A108
	buffer_load_dwordx4 a[32:35], v30, s[8:11], 0 offen        // 000000003764: E05C1000 8082201E
	v_mfma_f32_16x16x32_fp8_fp8 v[48:51], a[10:11], a[82:83], v[48:51]// 00000000376C: D3F30030 1CC2A50A
	buffer_load_dword v108, v135, s[20:23], 0 offen            // 000000003774: E0501000 80056C87
	v_mfma_f32_16x16x32_fp8_fp8 v[48:51], a[12:13], a[84:85], v[48:51]// 00000000377C: D3F30030 1CC2A90C
	buffer_load_dwordx4 a[36:39], v31, s[8:11], 0 offen        // 000000003784: E05C1000 8082241F
	v_mfma_f32_16x16x32_fp8_fp8 v[48:51], a[14:15], a[86:87], v[48:51]// 00000000378C: D3F30030 1CC2AD0E
	v_pk_fma_f32 v[76:77], v[4:5], v[44:45], v[76:77]          // 000000003794: D3B0404C 1D325904
	v_pk_fma_f32 v[78:79], v[4:5], v[46:47], v[78:79]          // 00000000379C: D3B0404E 1D3A5D04
	v_pk_fma_f32 v[80:81], v[4:5], v[48:49], v[80:81]          // 0000000037A4: D3B04050 1D426104
	v_pk_fma_f32 v[82:83], v[4:5], v[50:51], v[82:83]          // 0000000037AC: D3B04052 1D4A6504
	v_mfma_f32_16x16x32_fp8_fp8 v[52:55], a[0:1], a[88:89], 0  // 0000000037B4: D3F30034 1A02B100
	s_add_u32 m0, 0x200, s58                                   // 0000000037BC: 807C3AFF 00000200
	buffer_load_dword v36, s[4:7], 0 offen lds                 // 0000000037C4: E0511000 80010024
	v_mfma_f32_16x16x32_fp8_fp8 v[52:55], a[2:3], a[90:91], v[52:55]// 0000000037CC: D3F30034 1CD2B502
	ds_read_b128 a[56:59], v42 offset:8832                     // 0000000037D4: DBFE2280 3800002A
	v_mfma_f32_16x16x32_fp8_fp8 v[52:55], a[4:5], a[92:93], v[52:55]// 0000000037DC: D3F30034 1CD2B904
	s_add_u32 m0, 0x300, s58                                   // 0000000037E4: 807C3AFF 00000300
	buffer_load_dword v37, s[4:7], 0 offen lds                 // 0000000037EC: E0511000 80010025
	v_mfma_f32_16x16x32_fp8_fp8 v[52:55], a[6:7], a[94:95], v[52:55]// 0000000037F4: D3F30034 1CD2BD06
	ds_read_b128 a[60:63], v42 offset:8896                     // 0000000037FC: DBFE22C0 3C00002A
	v_mul_f32_e32 v4, v132, v109                               // 000000003804: 0A08DB84
	v_mov_b32_e32 v5, v4                                       // 000000003808: 7E0A0304
	v_mfma_f32_16x16x32_fp8_fp8 v[56:59], a[8:9], a[88:89], 0  // 00000000380C: D3F30038 1A02B108
	buffer_load_dwordx4 a[40:43], v32, s[8:11], 0 offen        // 000000003814: E05C1000 80822820
	v_mfma_f32_16x16x32_fp8_fp8 v[56:59], a[10:11], a[90:91], v[56:59]// 00000000381C: D3F30038 1CE2B50A
	buffer_load_dword v109, v136, s[20:23], 0 offen            // 000000003824: E0501000 80056D88
	v_mfma_f32_16x16x32_fp8_fp8 v[56:59], a[12:13], a[92:93], v[56:59]// 00000000382C: D3F30038 1CE2B90C
	buffer_load_dwordx4 a[44:47], v33, s[8:11], 0 offen        // 000000003834: E05C1000 80822C21
	v_mfma_f32_16x16x32_fp8_fp8 v[56:59], a[14:15], a[94:95], v[56:59]// 00000000383C: D3F30038 1CE2BD0E
	v_pk_fma_f32 v[84:85], v[4:5], v[52:53], v[84:85]          // 000000003844: D3B04054 1D526904
	v_pk_fma_f32 v[86:87], v[4:5], v[54:55], v[86:87]          // 00000000384C: D3B04056 1D5A6D04
	v_pk_fma_f32 v[88:89], v[4:5], v[56:57], v[88:89]          // 000000003854: D3B04058 1D627104
	v_pk_fma_f32 v[90:91], v[4:5], v[58:59], v[90:91]          // 00000000385C: D3B0405A 1D6A7504
	v_mfma_f32_16x16x32_fp8_fp8 v[60:63], a[0:1], a[96:97], 0  // 000000003864: D3F3003C 1A02C100
	s_add_u32 m0, 0x400, s58                                   // 00000000386C: 807C3AFF 00000400
	buffer_load_dword v38, s[4:7], 0 offen lds                 // 000000003874: E0511000 80010026
	v_mfma_f32_16x16x32_fp8_fp8 v[60:63], a[2:3], a[98:99], v[60:63]// 00000000387C: D3F3003C 1CF2C502
	ds_read_b128 a[64:67], v42 offset:9344                     // 000000003884: DBFE2480 4000002A
	v_mfma_f32_16x16x32_fp8_fp8 v[60:63], a[4:5], a[100:101], v[60:63]// 00000000388C: D3F3003C 1CF2C904
	s_add_u32 m0, 0x500, s58                                   // 000000003894: 807C3AFF 00000500
	buffer_load_dword v39, s[4:7], 0 offen lds                 // 00000000389C: E0511000 80010027
	v_mfma_f32_16x16x32_fp8_fp8 v[60:63], a[6:7], a[102:103], v[60:63]// 0000000038A4: D3F3003C 1CF2CD06
	ds_read_b128 a[68:71], v42 offset:9408                     // 0000000038AC: DBFE24C0 4400002A
	v_mul_f32_e32 v4, v132, v110                               // 0000000038B4: 0A08DD84
	v_mov_b32_e32 v5, v4                                       // 0000000038B8: 7E0A0304
	v_mfma_f32_16x16x32_fp8_fp8 v[64:67], a[8:9], a[96:97], 0  // 0000000038BC: D3F30040 1A02C108
	v_mfma_f32_16x16x32_fp8_fp8 v[64:67], a[10:11], a[98:99], v[64:67]// 0000000038C4: D3F30040 1D02C50A
	buffer_load_dword v110, v137, s[20:23], 0 offen            // 0000000038CC: E0501000 80056E89
	v_mfma_f32_16x16x32_fp8_fp8 v[64:67], a[12:13], a[100:101], v[64:67]// 0000000038D4: D3F30040 1D02C90C
	v_mfma_f32_16x16x32_fp8_fp8 v[64:67], a[14:15], a[102:103], v[64:67]// 0000000038DC: D3F30040 1D02CD0E
	v_pk_fma_f32 v[92:93], v[4:5], v[60:61], v[92:93]          // 0000000038E4: D3B0405C 1D727904
	v_pk_fma_f32 v[94:95], v[4:5], v[62:63], v[94:95]          // 0000000038EC: D3B0405E 1D7A7D04
	v_pk_fma_f32 v[96:97], v[4:5], v[64:65], v[96:97]          // 0000000038F4: D3B04060 1D828104
	v_pk_fma_f32 v[98:99], v[4:5], v[66:67], v[98:99]          // 0000000038FC: D3B04062 1D8A8504
	v_mfma_f32_16x16x32_fp8_fp8 v[68:71], a[0:1], a[104:105], 0// 000000003904: D3F30044 1A02D100
	s_add_u32 m0, 0x600, s58                                   // 00000000390C: 807C3AFF 00000600
	buffer_load_dword v40, s[4:7], 0 offen lds                 // 000000003914: E0511000 80010028
	v_mfma_f32_16x16x32_fp8_fp8 v[68:71], a[2:3], a[106:107], v[68:71]// 00000000391C: D3F30044 1D12D502
	ds_read_b128 a[72:75], v42 offset:9856                     // 000000003924: DBFE2680 4800002A
	v_mfma_f32_16x16x32_fp8_fp8 v[68:71], a[4:5], a[108:109], v[68:71]// 00000000392C: D3F30044 1D12D904
	s_add_u32 m0, 0x700, s58                                   // 000000003934: 807C3AFF 00000700
	buffer_load_dword v41, s[4:7], 0 offen lds                 // 00000000393C: E0511000 80010029
	v_mfma_f32_16x16x32_fp8_fp8 v[68:71], a[6:7], a[110:111], v[68:71]// 000000003944: D3F30044 1D12DD06
	ds_read_b128 a[76:79], v42 offset:9920                     // 00000000394C: DBFE26C0 4C00002A
	v_mul_f32_e32 v4, v132, v111                               // 000000003954: 0A08DF84
	v_mov_b32_e32 v5, v4                                       // 000000003958: 7E0A0304
	v_mfma_f32_16x16x32_fp8_fp8 v[72:75], a[8:9], a[104:105], 0// 00000000395C: D3F30048 1A02D108
	v_mfma_f32_16x16x32_fp8_fp8 v[72:75], a[10:11], a[106:107], v[72:75]// 000000003964: D3F30048 1D22D50A
	buffer_load_dword v111, v138, s[20:23], 0 offen            // 00000000396C: E0501000 80056F8A
	s_add_u32 s50, 0x200, s42                                  // 000000003974: 80322AFF 00000200
	s_cmp_lt_u32 s50, s43                                      // 00000000397C: BF0A2B32
	s_cselect_b32 s54, s54, 0                                  // 000000003980: 85368036
	s_add_u32 s50, 0x180, s42                                  // 000000003984: 80322AFF 00000180
	s_cmp_lt_u32 s50, s43                                      // 00000000398C: BF0A2B32
	s_cselect_b32 s55, s55, 0                                  // 000000003990: 85378037
	s_add_u32 s50, 0x200, s42                                  // 000000003994: 80322AFF 00000200
	s_cmp_lt_u32 s50, s43                                      // 00000000399C: BF0A2B32
	s_cselect_b32 s56, s56, 0                                  // 0000000039A0: 85388038
	s_add_u32 s50, 0x180, s42                                  // 0000000039A4: 80322AFF 00000180
	s_cmp_lt_u32 s50, s43                                      // 0000000039AC: BF0A2B32
	s_cselect_b32 s57, s57, 0                                  // 0000000039B0: 85398039
	v_mfma_f32_16x16x32_fp8_fp8 v[72:75], a[12:13], a[108:109], v[72:75]// 0000000039B4: D3F30048 1D22D90C
	v_mfma_f32_16x16x32_fp8_fp8 v[72:75], a[14:15], a[110:111], v[72:75]// 0000000039BC: D3F30048 1D22DD0E
	buffer_load_dword v134, v143, s[24:27], 0 offen            // 0000000039C4: E0501000 8006868F
	s_add_u32 s4, s54, s4                                      // 0000000039CC: 80040436
	s_addc_u32 s5, 0, s5                                       // 0000000039D0: 82050580
	s_sub_u32 s6, s6, s54                                      // 0000000039D4: 80863606
	s_add_u32 s8, s55, s8                                      // 0000000039D8: 80080837
	s_addc_u32 s9, 0, s9                                       // 0000000039DC: 82090980
	s_sub_u32 s10, s10, s55                                    // 0000000039E0: 808A370A
	s_add_u32 s20, s56, s20                                    // 0000000039E4: 80141438
	s_addc_u32 s21, 0, s21                                     // 0000000039E8: 82151580
	s_add_u32 s24, s57, s24                                    // 0000000039EC: 80181839
	s_addc_u32 s25, 0, s25                                     // 0000000039F0: 82191980
	s_sub_u32 s26, s26, s57                                    // 0000000039F4: 809A391A
	v_pk_fma_f32 v[100:101], v[4:5], v[68:69], v[100:101]      // 0000000039F8: D3B04064 1D928904
	v_pk_fma_f32 v[102:103], v[4:5], v[70:71], v[102:103]      // 000000003A00: D3B04066 1D9A8D04
	v_pk_fma_f32 v[104:105], v[4:5], v[72:73], v[104:105]      // 000000003A08: D3B04068 1DA29104
	v_pk_fma_f32 v[106:107], v[4:5], v[74:75], v[106:107]      // 000000003A10: D3B0406A 1DAA9504
	s_addk_i32 s42, 0x80                                       // 000000003A18: B72A0080
	s_cmp_lt_i32 s42, s43                                      // 000000003A1C: BF042B2A
	s_cbranch_scc0 label_075C                                  // 000000003A20: BF840193
	s_waitcnt vmcnt(16) lgkmcnt(0)                             // 000000003A24: BF8C4070
	s_barrier                                                  // 000000003A28: BF8A0000
	v_mfma_f32_16x16x32_fp8_fp8 v[44:47], a[16:17], a[48:49], 0// 000000003A2C: D3F3002C 1A026110
	s_add_u32 m0, 0, s59                                       // 000000003A34: 807C3B80
	buffer_load_dword v34, s[4:7], 0 offen lds                 // 000000003A38: E0511000 80010022
	v_mfma_f32_16x16x32_fp8_fp8 v[44:47], a[18:19], a[50:51], v[44:47]// 000000003A40: D3F3002C 1CB26512
	ds_read_b128 a[80:83], v42 offset:16640                    // 000000003A48: DBFE4100 5000002A
	v_mfma_f32_16x16x32_fp8_fp8 v[44:47], a[20:21], a[52:53], v[44:47]// 000000003A50: D3F3002C 1CB26914
	s_add_u32 m0, 0x100, s59                                   // 000000003A58: 807C3BFF 00000100
	buffer_load_dword v35, s[4:7], 0 offen lds                 // 000000003A60: E0511000 80010023
	v_mfma_f32_16x16x32_fp8_fp8 v[44:47], a[22:23], a[54:55], v[44:47]// 000000003A68: D3F3002C 1CB26D16
	ds_read_b128 a[84:87], v42 offset:16704                    // 000000003A70: DBFE4140 5400002A
	v_mul_f32_e32 v4, v133, v112                               // 000000003A78: 0A08E185
	v_mov_b32_e32 v5, v4                                       // 000000003A7C: 7E0A0304
	v_mfma_f32_16x16x32_fp8_fp8 v[48:51], a[24:25], a[48:49], 0// 000000003A80: D3F30030 1A026118
	buffer_load_dwordx4 a[0:3], v30, s[8:11], 0 offen          // 000000003A88: E05C1000 8082001E
	v_mfma_f32_16x16x32_fp8_fp8 v[48:51], a[26:27], a[50:51], v[48:51]// 000000003A90: D3F30030 1CC2651A
	buffer_load_dword v112, v135, s[20:23], 0 offen            // 000000003A98: E0501000 80057087
	v_mfma_f32_16x16x32_fp8_fp8 v[48:51], a[28:29], a[52:53], v[48:51]// 000000003AA0: D3F30030 1CC2691C
	buffer_load_dwordx4 a[4:7], v31, s[8:11], 0 offen          // 000000003AA8: E05C1000 8082041F
	v_mfma_f32_16x16x32_fp8_fp8 v[48:51], a[30:31], a[54:55], v[48:51]// 000000003AB0: D3F30030 1CC26D1E
	v_pk_fma_f32 v[76:77], v[4:5], v[44:45], v[76:77]          // 000000003AB8: D3B0404C 1D325904
	v_pk_fma_f32 v[78:79], v[4:5], v[46:47], v[78:79]          // 000000003AC0: D3B0404E 1D3A5D04
	v_pk_fma_f32 v[80:81], v[4:5], v[48:49], v[80:81]          // 000000003AC8: D3B04050 1D426104
	v_pk_fma_f32 v[82:83], v[4:5], v[50:51], v[82:83]          // 000000003AD0: D3B04052 1D4A6504
	v_mfma_f32_16x16x32_fp8_fp8 v[52:55], a[16:17], a[56:57], 0// 000000003AD8: D3F30034 1A027110
	s_add_u32 m0, 0x200, s59                                   // 000000003AE0: 807C3BFF 00000200
	buffer_load_dword v36, s[4:7], 0 offen lds                 // 000000003AE8: E0511000 80010024
	v_mfma_f32_16x16x32_fp8_fp8 v[52:55], a[18:19], a[58:59], v[52:55]// 000000003AF0: D3F30034 1CD27512
	ds_read_b128 a[88:91], v42 offset:17152                    // 000000003AF8: DBFE4300 5800002A
	v_mfma_f32_16x16x32_fp8_fp8 v[52:55], a[20:21], a[60:61], v[52:55]// 000000003B00: D3F30034 1CD27914
	s_add_u32 m0, 0x300, s59                                   // 000000003B08: 807C3BFF 00000300
	buffer_load_dword v37, s[4:7], 0 offen lds                 // 000000003B10: E0511000 80010025
	v_mfma_f32_16x16x32_fp8_fp8 v[52:55], a[22:23], a[62:63], v[52:55]// 000000003B18: D3F30034 1CD27D16
	ds_read_b128 a[92:95], v42 offset:17216                    // 000000003B20: DBFE4340 5C00002A
	v_mul_f32_e32 v4, v133, v113                               // 000000003B28: 0A08E385
	v_mov_b32_e32 v5, v4                                       // 000000003B2C: 7E0A0304
	v_mfma_f32_16x16x32_fp8_fp8 v[56:59], a[24:25], a[56:57], 0// 000000003B30: D3F30038 1A027118
	buffer_load_dwordx4 a[8:11], v32, s[8:11], 0 offen         // 000000003B38: E05C1000 80820820
	v_mfma_f32_16x16x32_fp8_fp8 v[56:59], a[26:27], a[58:59], v[56:59]// 000000003B40: D3F30038 1CE2751A
	buffer_load_dword v113, v136, s[20:23], 0 offen            // 000000003B48: E0501000 80057188
	v_mfma_f32_16x16x32_fp8_fp8 v[56:59], a[28:29], a[60:61], v[56:59]// 000000003B50: D3F30038 1CE2791C
	buffer_load_dwordx4 a[12:15], v33, s[8:11], 0 offen        // 000000003B58: E05C1000 80820C21
	v_mfma_f32_16x16x32_fp8_fp8 v[56:59], a[30:31], a[62:63], v[56:59]// 000000003B60: D3F30038 1CE27D1E
	v_pk_fma_f32 v[84:85], v[4:5], v[52:53], v[84:85]          // 000000003B68: D3B04054 1D526904
	v_pk_fma_f32 v[86:87], v[4:5], v[54:55], v[86:87]          // 000000003B70: D3B04056 1D5A6D04
	v_pk_fma_f32 v[88:89], v[4:5], v[56:57], v[88:89]          // 000000003B78: D3B04058 1D627104
	v_pk_fma_f32 v[90:91], v[4:5], v[58:59], v[90:91]          // 000000003B80: D3B0405A 1D6A7504
	v_mfma_f32_16x16x32_fp8_fp8 v[60:63], a[16:17], a[64:65], 0// 000000003B88: D3F3003C 1A028110
	s_add_u32 m0, 0x400, s59                                   // 000000003B90: 807C3BFF 00000400
	buffer_load_dword v38, s[4:7], 0 offen lds                 // 000000003B98: E0511000 80010026
	v_mfma_f32_16x16x32_fp8_fp8 v[60:63], a[18:19], a[66:67], v[60:63]// 000000003BA0: D3F3003C 1CF28512
	ds_read_b128 a[96:99], v42 offset:17664                    // 000000003BA8: DBFE4500 6000002A
	v_mfma_f32_16x16x32_fp8_fp8 v[60:63], a[20:21], a[68:69], v[60:63]// 000000003BB0: D3F3003C 1CF28914
	s_add_u32 m0, 0x500, s59                                   // 000000003BB8: 807C3BFF 00000500
	buffer_load_dword v39, s[4:7], 0 offen lds                 // 000000003BC0: E0511000 80010027
	v_mfma_f32_16x16x32_fp8_fp8 v[60:63], a[22:23], a[70:71], v[60:63]// 000000003BC8: D3F3003C 1CF28D16
	ds_read_b128 a[100:103], v42 offset:17728                  // 000000003BD0: DBFE4540 6400002A
	v_mul_f32_e32 v4, v133, v114                               // 000000003BD8: 0A08E585
	v_mov_b32_e32 v5, v4                                       // 000000003BDC: 7E0A0304
	v_mfma_f32_16x16x32_fp8_fp8 v[64:67], a[24:25], a[64:65], 0// 000000003BE0: D3F30040 1A028118
	v_mfma_f32_16x16x32_fp8_fp8 v[64:67], a[26:27], a[66:67], v[64:67]// 000000003BE8: D3F30040 1D02851A
	buffer_load_dword v114, v137, s[20:23], 0 offen            // 000000003BF0: E0501000 80057289
	v_mfma_f32_16x16x32_fp8_fp8 v[64:67], a[28:29], a[68:69], v[64:67]// 000000003BF8: D3F30040 1D02891C
	v_mfma_f32_16x16x32_fp8_fp8 v[64:67], a[30:31], a[70:71], v[64:67]// 000000003C00: D3F30040 1D028D1E
	v_pk_fma_f32 v[92:93], v[4:5], v[60:61], v[92:93]          // 000000003C08: D3B0405C 1D727904
	v_pk_fma_f32 v[94:95], v[4:5], v[62:63], v[94:95]          // 000000003C10: D3B0405E 1D7A7D04
	v_pk_fma_f32 v[96:97], v[4:5], v[64:65], v[96:97]          // 000000003C18: D3B04060 1D828104
	v_pk_fma_f32 v[98:99], v[4:5], v[66:67], v[98:99]          // 000000003C20: D3B04062 1D8A8504
	v_mfma_f32_16x16x32_fp8_fp8 v[68:71], a[16:17], a[72:73], 0// 000000003C28: D3F30044 1A029110
	s_add_u32 m0, 0x600, s59                                   // 000000003C30: 807C3BFF 00000600
	buffer_load_dword v40, s[4:7], 0 offen lds                 // 000000003C38: E0511000 80010028
	v_mfma_f32_16x16x32_fp8_fp8 v[68:71], a[18:19], a[74:75], v[68:71]// 000000003C40: D3F30044 1D129512
	ds_read_b128 a[104:107], v42 offset:18176                  // 000000003C48: DBFE4700 6800002A
	v_mfma_f32_16x16x32_fp8_fp8 v[68:71], a[20:21], a[76:77], v[68:71]// 000000003C50: D3F30044 1D129914
	s_add_u32 m0, 0x700, s59                                   // 000000003C58: 807C3BFF 00000700
	buffer_load_dword v41, s[4:7], 0 offen lds                 // 000000003C60: E0511000 80010029
	v_mfma_f32_16x16x32_fp8_fp8 v[68:71], a[22:23], a[78:79], v[68:71]// 000000003C68: D3F30044 1D129D16
	ds_read_b128 a[108:111], v42 offset:18240                  // 000000003C70: DBFE4740 6C00002A
	v_mul_f32_e32 v4, v133, v115                               // 000000003C78: 0A08E785
	v_mov_b32_e32 v5, v4                                       // 000000003C7C: 7E0A0304
	v_mfma_f32_16x16x32_fp8_fp8 v[72:75], a[24:25], a[72:73], 0// 000000003C80: D3F30048 1A029118
	v_mfma_f32_16x16x32_fp8_fp8 v[72:75], a[26:27], a[74:75], v[72:75]// 000000003C88: D3F30048 1D22951A
	buffer_load_dword v115, v138, s[20:23], 0 offen            // 000000003C90: E0501000 8005738A
	s_add_u32 s50, 0x200, s42                                  // 000000003C98: 80322AFF 00000200
	s_cmp_lt_u32 s50, s43                                      // 000000003CA0: BF0A2B32
	s_cselect_b32 s54, s54, 0                                  // 000000003CA4: 85368036
	s_add_u32 s50, 0x180, s42                                  // 000000003CA8: 80322AFF 00000180
	s_cmp_lt_u32 s50, s43                                      // 000000003CB0: BF0A2B32
	s_cselect_b32 s55, s55, 0                                  // 000000003CB4: 85378037
	s_add_u32 s50, 0x200, s42                                  // 000000003CB8: 80322AFF 00000200
	s_cmp_lt_u32 s50, s43                                      // 000000003CC0: BF0A2B32
	s_cselect_b32 s56, s56, 0                                  // 000000003CC4: 85388038
	s_add_u32 s50, 0x180, s42                                  // 000000003CC8: 80322AFF 00000180
	s_cmp_lt_u32 s50, s43                                      // 000000003CD0: BF0A2B32
	s_cselect_b32 s57, s57, 0                                  // 000000003CD4: 85398039
	v_mfma_f32_16x16x32_fp8_fp8 v[72:75], a[28:29], a[76:77], v[72:75]// 000000003CD8: D3F30048 1D22991C
	v_mfma_f32_16x16x32_fp8_fp8 v[72:75], a[30:31], a[78:79], v[72:75]// 000000003CE0: D3F30048 1D229D1E
	buffer_load_dword v132, v143, s[24:27], 0 offen            // 000000003CE8: E0501000 8006848F
	s_add_u32 s4, s54, s4                                      // 000000003CF0: 80040436
	s_addc_u32 s5, 0, s5                                       // 000000003CF4: 82050580
	s_sub_u32 s6, s6, s54                                      // 000000003CF8: 80863606
	s_add_u32 s8, s55, s8                                      // 000000003CFC: 80080837
	s_addc_u32 s9, 0, s9                                       // 000000003D00: 82090980
	s_sub_u32 s10, s10, s55                                    // 000000003D04: 808A370A
	s_add_u32 s20, s56, s20                                    // 000000003D08: 80141438
	s_addc_u32 s21, 0, s21                                     // 000000003D0C: 82151580
	s_add_u32 s24, s57, s24                                    // 000000003D10: 80181839
	s_addc_u32 s25, 0, s25                                     // 000000003D14: 82191980
	s_sub_u32 s26, s26, s57                                    // 000000003D18: 809A391A
	v_pk_fma_f32 v[100:101], v[4:5], v[68:69], v[100:101]      // 000000003D1C: D3B04064 1D928904
	v_pk_fma_f32 v[102:103], v[4:5], v[70:71], v[102:103]      // 000000003D24: D3B04066 1D9A8D04
	v_pk_fma_f32 v[104:105], v[4:5], v[72:73], v[104:105]      // 000000003D2C: D3B04068 1DA29104
	v_pk_fma_f32 v[106:107], v[4:5], v[74:75], v[106:107]      // 000000003D34: D3B0406A 1DAA9504
	s_addk_i32 s42, 0x80                                       // 000000003D3C: B72A0080
	s_cmp_lt_i32 s42, s43                                      // 000000003D40: BF042B2A
	s_cbranch_scc0 label_075C                                  // 000000003D44: BF8400CA
	s_waitcnt vmcnt(16) lgkmcnt(0)                             // 000000003D48: BF8C4070
	s_barrier                                                  // 000000003D4C: BF8A0000
	v_mfma_f32_16x16x32_fp8_fp8 v[44:47], a[32:33], a[80:81], 0// 000000003D50: D3F3002C 1A02A120
	s_add_u32 m0, 0, s60                                       // 000000003D58: 807C3C80
	buffer_load_dword v34, s[4:7], 0 offen lds                 // 000000003D5C: E0511000 80010022
	v_mfma_f32_16x16x32_fp8_fp8 v[44:47], a[34:35], a[82:83], v[44:47]// 000000003D64: D3F3002C 1CB2A522
	ds_read_b128 a[48:51], v42                                 // 000000003D6C: DBFE0000 3000002A
	v_mfma_f32_16x16x32_fp8_fp8 v[44:47], a[36:37], a[84:85], v[44:47]// 000000003D74: D3F3002C 1CB2A924
	s_add_u32 m0, 0x100, s60                                   // 000000003D7C: 807C3CFF 00000100
	buffer_load_dword v35, s[4:7], 0 offen lds                 // 000000003D84: E0511000 80010023
	v_mfma_f32_16x16x32_fp8_fp8 v[44:47], a[38:39], a[86:87], v[44:47]// 000000003D8C: D3F3002C 1CB2AD26
	ds_read_b128 a[52:55], v42 offset:64                       // 000000003D94: DBFE0040 3400002A
	v_mul_f32_e32 v4, v134, v116                               // 000000003D9C: 0A08E986
	v_mov_b32_e32 v5, v4                                       // 000000003DA0: 7E0A0304
	v_mfma_f32_16x16x32_fp8_fp8 v[48:51], a[40:41], a[80:81], 0// 000000003DA4: D3F30030 1A02A128
	buffer_load_dwordx4 a[16:19], v30, s[8:11], 0 offen        // 000000003DAC: E05C1000 8082101E
	v_mfma_f32_16x16x32_fp8_fp8 v[48:51], a[42:43], a[82:83], v[48:51]// 000000003DB4: D3F30030 1CC2A52A
	buffer_load_dword v116, v135, s[20:23], 0 offen            // 000000003DBC: E0501000 80057487
	v_mfma_f32_16x16x32_fp8_fp8 v[48:51], a[44:45], a[84:85], v[48:51]// 000000003DC4: D3F30030 1CC2A92C
	buffer_load_dwordx4 a[20:23], v31, s[8:11], 0 offen        // 000000003DCC: E05C1000 8082141F
	v_mfma_f32_16x16x32_fp8_fp8 v[48:51], a[46:47], a[86:87], v[48:51]// 000000003DD4: D3F30030 1CC2AD2E
	v_pk_fma_f32 v[76:77], v[4:5], v[44:45], v[76:77]          // 000000003DDC: D3B0404C 1D325904
	v_pk_fma_f32 v[78:79], v[4:5], v[46:47], v[78:79]          // 000000003DE4: D3B0404E 1D3A5D04
	v_pk_fma_f32 v[80:81], v[4:5], v[48:49], v[80:81]          // 000000003DEC: D3B04050 1D426104
	v_pk_fma_f32 v[82:83], v[4:5], v[50:51], v[82:83]          // 000000003DF4: D3B04052 1D4A6504
	v_mfma_f32_16x16x32_fp8_fp8 v[52:55], a[32:33], a[88:89], 0// 000000003DFC: D3F30034 1A02B120
	s_add_u32 m0, 0x200, s60                                   // 000000003E04: 807C3CFF 00000200
	buffer_load_dword v36, s[4:7], 0 offen lds                 // 000000003E0C: E0511000 80010024
	v_mfma_f32_16x16x32_fp8_fp8 v[52:55], a[34:35], a[90:91], v[52:55]// 000000003E14: D3F30034 1CD2B522
	ds_read_b128 a[56:59], v42 offset:512                      // 000000003E1C: DBFE0200 3800002A
	v_mfma_f32_16x16x32_fp8_fp8 v[52:55], a[36:37], a[92:93], v[52:55]// 000000003E24: D3F30034 1CD2B924
	s_add_u32 m0, 0x300, s60                                   // 000000003E2C: 807C3CFF 00000300
	buffer_load_dword v37, s[4:7], 0 offen lds                 // 000000003E34: E0511000 80010025
	v_mfma_f32_16x16x32_fp8_fp8 v[52:55], a[38:39], a[94:95], v[52:55]// 000000003E3C: D3F30034 1CD2BD26
	ds_read_b128 a[60:63], v42 offset:576                      // 000000003E44: DBFE0240 3C00002A
	v_mul_f32_e32 v4, v134, v117                               // 000000003E4C: 0A08EB86
	v_mov_b32_e32 v5, v4                                       // 000000003E50: 7E0A0304
	v_mfma_f32_16x16x32_fp8_fp8 v[56:59], a[40:41], a[88:89], 0// 000000003E54: D3F30038 1A02B128
	buffer_load_dwordx4 a[24:27], v32, s[8:11], 0 offen        // 000000003E5C: E05C1000 80821820
	v_mfma_f32_16x16x32_fp8_fp8 v[56:59], a[42:43], a[90:91], v[56:59]// 000000003E64: D3F30038 1CE2B52A
	buffer_load_dword v117, v136, s[20:23], 0 offen            // 000000003E6C: E0501000 80057588
	v_mfma_f32_16x16x32_fp8_fp8 v[56:59], a[44:45], a[92:93], v[56:59]// 000000003E74: D3F30038 1CE2B92C
	buffer_load_dwordx4 a[28:31], v33, s[8:11], 0 offen        // 000000003E7C: E05C1000 80821C21
	v_mfma_f32_16x16x32_fp8_fp8 v[56:59], a[46:47], a[94:95], v[56:59]// 000000003E84: D3F30038 1CE2BD2E
	v_pk_fma_f32 v[84:85], v[4:5], v[52:53], v[84:85]          // 000000003E8C: D3B04054 1D526904
	v_pk_fma_f32 v[86:87], v[4:5], v[54:55], v[86:87]          // 000000003E94: D3B04056 1D5A6D04
	v_pk_fma_f32 v[88:89], v[4:5], v[56:57], v[88:89]          // 000000003E9C: D3B04058 1D627104
	v_pk_fma_f32 v[90:91], v[4:5], v[58:59], v[90:91]          // 000000003EA4: D3B0405A 1D6A7504
	v_mfma_f32_16x16x32_fp8_fp8 v[60:63], a[32:33], a[96:97], 0// 000000003EAC: D3F3003C 1A02C120
	s_add_u32 m0, 0x400, s60                                   // 000000003EB4: 807C3CFF 00000400
	buffer_load_dword v38, s[4:7], 0 offen lds                 // 000000003EBC: E0511000 80010026
	v_mfma_f32_16x16x32_fp8_fp8 v[60:63], a[34:35], a[98:99], v[60:63]// 000000003EC4: D3F3003C 1CF2C522
	ds_read_b128 a[64:67], v42 offset:1024                     // 000000003ECC: DBFE0400 4000002A
	v_mfma_f32_16x16x32_fp8_fp8 v[60:63], a[36:37], a[100:101], v[60:63]// 000000003ED4: D3F3003C 1CF2C924
	s_add_u32 m0, 0x500, s60                                   // 000000003EDC: 807C3CFF 00000500
	buffer_load_dword v39, s[4:7], 0 offen lds                 // 000000003EE4: E0511000 80010027
	v_mfma_f32_16x16x32_fp8_fp8 v[60:63], a[38:39], a[102:103], v[60:63]// 000000003EEC: D3F3003C 1CF2CD26
	ds_read_b128 a[68:71], v42 offset:1088                     // 000000003EF4: DBFE0440 4400002A
	v_mul_f32_e32 v4, v134, v118                               // 000000003EFC: 0A08ED86
	v_mov_b32_e32 v5, v4                                       // 000000003F00: 7E0A0304
	v_mfma_f32_16x16x32_fp8_fp8 v[64:67], a[40:41], a[96:97], 0// 000000003F04: D3F30040 1A02C128
	v_mfma_f32_16x16x32_fp8_fp8 v[64:67], a[42:43], a[98:99], v[64:67]// 000000003F0C: D3F30040 1D02C52A
	buffer_load_dword v118, v137, s[20:23], 0 offen            // 000000003F14: E0501000 80057689
	v_mfma_f32_16x16x32_fp8_fp8 v[64:67], a[44:45], a[100:101], v[64:67]// 000000003F1C: D3F30040 1D02C92C
	v_mfma_f32_16x16x32_fp8_fp8 v[64:67], a[46:47], a[102:103], v[64:67]// 000000003F24: D3F30040 1D02CD2E
	v_pk_fma_f32 v[92:93], v[4:5], v[60:61], v[92:93]          // 000000003F2C: D3B0405C 1D727904
	v_pk_fma_f32 v[94:95], v[4:5], v[62:63], v[94:95]          // 000000003F34: D3B0405E 1D7A7D04
	v_pk_fma_f32 v[96:97], v[4:5], v[64:65], v[96:97]          // 000000003F3C: D3B04060 1D828104
	v_pk_fma_f32 v[98:99], v[4:5], v[66:67], v[98:99]          // 000000003F44: D3B04062 1D8A8504
	v_mfma_f32_16x16x32_fp8_fp8 v[68:71], a[32:33], a[104:105], 0// 000000003F4C: D3F30044 1A02D120
	s_add_u32 m0, 0x600, s60                                   // 000000003F54: 807C3CFF 00000600
	buffer_load_dword v40, s[4:7], 0 offen lds                 // 000000003F5C: E0511000 80010028
	v_mfma_f32_16x16x32_fp8_fp8 v[68:71], a[34:35], a[106:107], v[68:71]// 000000003F64: D3F30044 1D12D522
	ds_read_b128 a[72:75], v42 offset:1536                     // 000000003F6C: DBFE0600 4800002A
	v_mfma_f32_16x16x32_fp8_fp8 v[68:71], a[36:37], a[108:109], v[68:71]// 000000003F74: D3F30044 1D12D924
	s_add_u32 m0, 0x700, s60                                   // 000000003F7C: 807C3CFF 00000700
	buffer_load_dword v41, s[4:7], 0 offen lds                 // 000000003F84: E0511000 80010029
	v_mfma_f32_16x16x32_fp8_fp8 v[68:71], a[38:39], a[110:111], v[68:71]// 000000003F8C: D3F30044 1D12DD26
	ds_read_b128 a[76:79], v42 offset:1600                     // 000000003F94: DBFE0640 4C00002A
	v_mul_f32_e32 v4, v134, v119                               // 000000003F9C: 0A08EF86
	v_mov_b32_e32 v5, v4                                       // 000000003FA0: 7E0A0304
	v_mfma_f32_16x16x32_fp8_fp8 v[72:75], a[40:41], a[104:105], 0// 000000003FA4: D3F30048 1A02D128
	v_mfma_f32_16x16x32_fp8_fp8 v[72:75], a[42:43], a[106:107], v[72:75]// 000000003FAC: D3F30048 1D22D52A
	buffer_load_dword v119, v138, s[20:23], 0 offen            // 000000003FB4: E0501000 8005778A
	s_add_u32 s50, 0x200, s42                                  // 000000003FBC: 80322AFF 00000200
	s_cmp_lt_u32 s50, s43                                      // 000000003FC4: BF0A2B32
	s_cselect_b32 s54, s54, 0                                  // 000000003FC8: 85368036
	s_add_u32 s50, 0x180, s42                                  // 000000003FCC: 80322AFF 00000180
	s_cmp_lt_u32 s50, s43                                      // 000000003FD4: BF0A2B32
	s_cselect_b32 s55, s55, 0                                  // 000000003FD8: 85378037
	s_add_u32 s50, 0x200, s42                                  // 000000003FDC: 80322AFF 00000200
	s_cmp_lt_u32 s50, s43                                      // 000000003FE4: BF0A2B32
	s_cselect_b32 s56, s56, 0                                  // 000000003FE8: 85388038
	s_add_u32 s50, 0x180, s42                                  // 000000003FEC: 80322AFF 00000180
	s_cmp_lt_u32 s50, s43                                      // 000000003FF4: BF0A2B32
	s_cselect_b32 s57, s57, 0                                  // 000000003FF8: 85398039
	v_mfma_f32_16x16x32_fp8_fp8 v[72:75], a[44:45], a[108:109], v[72:75]// 000000003FFC: D3F30048 1D22D92C
	v_mfma_f32_16x16x32_fp8_fp8 v[72:75], a[46:47], a[110:111], v[72:75]// 000000004004: D3F30048 1D22DD2E
	buffer_load_dword v133, v143, s[24:27], 0 offen            // 00000000400C: E0501000 8006858F
	s_add_u32 s4, s54, s4                                      // 000000004014: 80040436
	s_addc_u32 s5, 0, s5                                       // 000000004018: 82050580
	s_sub_u32 s6, s6, s54                                      // 00000000401C: 80863606
	s_add_u32 s8, s55, s8                                      // 000000004020: 80080837
	s_addc_u32 s9, 0, s9                                       // 000000004024: 82090980
	s_sub_u32 s10, s10, s55                                    // 000000004028: 808A370A
	s_add_u32 s20, s56, s20                                    // 00000000402C: 80141438
	s_addc_u32 s21, 0, s21                                     // 000000004030: 82151580
	s_add_u32 s24, s57, s24                                    // 000000004034: 80181839
	s_addc_u32 s25, 0, s25                                     // 000000004038: 82191980
	s_sub_u32 s26, s26, s57                                    // 00000000403C: 809A391A
	v_pk_fma_f32 v[100:101], v[4:5], v[68:69], v[100:101]      // 000000004040: D3B04064 1D928904
	v_pk_fma_f32 v[102:103], v[4:5], v[70:71], v[102:103]      // 000000004048: D3B04066 1D9A8D04
	v_pk_fma_f32 v[104:105], v[4:5], v[72:73], v[104:105]      // 000000004050: D3B04068 1DA29104
	v_pk_fma_f32 v[106:107], v[4:5], v[74:75], v[106:107]      // 000000004058: D3B0406A 1DAA9504
	s_addk_i32 s42, 0x80                                       // 000000004060: B72A0080
	s_cmp_lt_i32 s42, s43                                      // 000000004064: BF042B2A
	s_cbranch_scc0 label_075C                                  // 000000004068: BF840001
	s_branch label_02A5                                        // 00000000406C: BF82FB49

0000000000004070 <label_075C>:
	s_cmp_eq_u32 s38, 1                                        // 000000004070: BF068126
	s_cbranch_scc1 label_0862                                  // 000000004074: BF850104
	v_add_f32_e32 v76, v76, v12                                // 000000004078: 0298194C
	v_add_f32_e32 v77, v77, v13                                // 00000000407C: 029A1B4D
	v_perm_b32 v44, v77, v76, s48                              // 000000004080: D1ED002C 00C2994D
	v_add_f32_e32 v78, v78, v14                                // 000000004088: 029C1D4E
	v_add_f32_e32 v79, v79, v15                                // 00000000408C: 029E1F4F
	v_perm_b32 v45, v79, v78, s48                              // 000000004090: D1ED002D 00C29D4F
	v_add_f32_e32 v80, v80, v16                                // 000000004098: 02A02150
	v_add_f32_e32 v81, v81, v17                                // 00000000409C: 02A22351
	v_perm_b32 v46, v81, v80, s48                              // 0000000040A0: D1ED002E 00C2A151
	v_add_f32_e32 v82, v82, v18                                // 0000000040A8: 02A42552
	v_add_f32_e32 v83, v83, v19                                // 0000000040AC: 02A62753
	v_perm_b32 v47, v83, v82, s48                              // 0000000040B0: D1ED002F 00C2A553
	v_add_f32_e32 v84, v84, v12                                // 0000000040B8: 02A81954
	v_add_f32_e32 v85, v85, v13                                // 0000000040BC: 02AA1B55
	v_perm_b32 v48, v85, v84, s48                              // 0000000040C0: D1ED0030 00C2A955
	v_add_f32_e32 v86, v86, v14                                // 0000000040C8: 02AC1D56
	v_add_f32_e32 v87, v87, v15                                // 0000000040CC: 02AE1F57
	v_perm_b32 v49, v87, v86, s48                              // 0000000040D0: D1ED0031 00C2AD57
	v_add_f32_e32 v88, v88, v16                                // 0000000040D8: 02B02158
	v_add_f32_e32 v89, v89, v17                                // 0000000040DC: 02B22359
	v_perm_b32 v50, v89, v88, s48                              // 0000000040E0: D1ED0032 00C2B159
	v_add_f32_e32 v90, v90, v18                                // 0000000040E8: 02B4255A
	v_add_f32_e32 v91, v91, v19                                // 0000000040EC: 02B6275B
	v_perm_b32 v51, v91, v90, s48                              // 0000000040F0: D1ED0033 00C2B55B
	v_add_f32_e32 v92, v92, v12                                // 0000000040F8: 02B8195C
	v_add_f32_e32 v93, v93, v13                                // 0000000040FC: 02BA1B5D
	v_perm_b32 v52, v93, v92, s48                              // 000000004100: D1ED0034 00C2B95D
	v_add_f32_e32 v94, v94, v14                                // 000000004108: 02BC1D5E
	v_add_f32_e32 v95, v95, v15                                // 00000000410C: 02BE1F5F
	v_perm_b32 v53, v95, v94, s48                              // 000000004110: D1ED0035 00C2BD5F
	v_add_f32_e32 v96, v96, v16                                // 000000004118: 02C02160
	v_add_f32_e32 v97, v97, v17                                // 00000000411C: 02C22361
	v_perm_b32 v54, v97, v96, s48                              // 000000004120: D1ED0036 00C2C161
	v_add_f32_e32 v98, v98, v18                                // 000000004128: 02C42562
	v_add_f32_e32 v99, v99, v19                                // 00000000412C: 02C62763
	v_perm_b32 v55, v99, v98, s48                              // 000000004130: D1ED0037 00C2C563
	v_add_f32_e32 v100, v100, v12                              // 000000004138: 02C81964
	v_add_f32_e32 v101, v101, v13                              // 00000000413C: 02CA1B65
	v_perm_b32 v56, v101, v100, s48                            // 000000004140: D1ED0038 00C2C965
	v_add_f32_e32 v102, v102, v14                              // 000000004148: 02CC1D66
	v_add_f32_e32 v103, v103, v15                              // 00000000414C: 02CE1F67
	v_perm_b32 v57, v103, v102, s48                            // 000000004150: D1ED0039 00C2CD67
	v_add_f32_e32 v104, v104, v16                              // 000000004158: 02D02168
	v_add_f32_e32 v105, v105, v17                              // 00000000415C: 02D22369
	v_perm_b32 v58, v105, v104, s48                            // 000000004160: D1ED003A 00C2D169
	v_add_f32_e32 v106, v106, v18                              // 000000004168: 02D4256A
	v_add_f32_e32 v107, v107, v19                              // 00000000416C: 02D6276B
	v_perm_b32 v59, v107, v106, s48                            // 000000004170: D1ED003B 00C2D56B
	v_lshrrev_b32_e32 v4, 4, v0                                // 000000004178: 20080084
	v_mul_u32_u24_e32 v42, 34, v4                              // 00000000417C: 105408A2
	v_and_b32_e32 v4, 15, v0                                   // 000000004180: 2608008F
	v_mul_lo_u32 v5, 2, v4                                     // 000000004184: D2850005 00020882
	v_add_u32_e32 v42, v5, v42                                 // 00000000418C: 68545505
	s_mul_i32 s50, s47, 0x110                                  // 000000004190: 9232FF2F 00000110
	v_add_u32_e32 v42, s50, v42                                // 000000004198: 68545432
	v_lshlrev_b32_e32 v42, 2, v42                              // 00000000419C: 24545482
	v_lshrrev_b32_e32 v4, 1, v0                                // 0000000041A0: 20080081
	v_mul_u32_u24_e32 v34, 34, v4                              // 0000000041A4: 104408A2
	v_and_b32_e32 v5, 1, v0                                    // 0000000041A8: 260A0081
	v_add_u32_e32 v34, v5, v34                                 // 0000000041AC: 68444505
	s_mul_i32 s50, s47, 2                                      // 0000000041B0: 9232822F
	v_add_u32_e32 v34, s50, v34                                // 0000000041B4: 68444432
	v_lshlrev_b32_e32 v34, 2, v34                              // 0000000041B8: 24444482
	s_waitcnt vmcnt(0) expcnt(0) lgkmcnt(0)                    // 0000000041BC: BF8C0000
	s_barrier                                                  // 0000000041C0: BF8A0000
	ds_write_b64 v42, v[44:45]                                 // 0000000041C4: D89A0000 00002C2A
	ds_write_b64 v42, v[46:47] offset:544                      // 0000000041CC: D89A0220 00002E2A
	ds_write_b64 v42, v[48:49] offset:4352                     // 0000000041D4: D89A1100 0000302A
	ds_write_b64 v42, v[50:51] offset:4896                     // 0000000041DC: D89A1320 0000322A
	ds_write_b64 v42, v[52:53] offset:8704                     // 0000000041E4: D89A2200 0000342A
	ds_write_b64 v42, v[54:55] offset:9248                     // 0000000041EC: D89A2420 0000362A
	ds_write_b64 v42, v[56:57] offset:13056                    // 0000000041F4: D89A3300 0000382A
	ds_write_b64 v42, v[58:59] offset:13600                    // 0000000041FC: D89A3520 00003A2A
	s_waitcnt lgkmcnt(0)                                       // 000000004204: BF8CC07F
	s_barrier                                                  // 000000004208: BF8A0000
	ds_read_b32 v44, v34                                       // 00000000420C: D86C0000 2C000022
	ds_read_b32 v45, v34 offset:32                             // 000000004214: D86C0020 2D000022
	ds_read_b32 v46, v34 offset:64                             // 00000000421C: D86C0040 2E000022
	ds_read_b32 v47, v34 offset:96                             // 000000004224: D86C0060 2F000022
	ds_read_b32 v48, v34 offset:4352                           // 00000000422C: D86C1100 30000022
	ds_read_b32 v49, v34 offset:4384                           // 000000004234: D86C1120 31000022
	ds_read_b32 v50, v34 offset:4416                           // 00000000423C: D86C1140 32000022
	ds_read_b32 v51, v34 offset:4448                           // 000000004244: D86C1160 33000022
	ds_read_b32 v52, v34 offset:8704                           // 00000000424C: D86C2200 34000022
	ds_read_b32 v53, v34 offset:8736                           // 000000004254: D86C2220 35000022
	ds_read_b32 v54, v34 offset:8768                           // 00000000425C: D86C2240 36000022
	ds_read_b32 v55, v34 offset:8800                           // 000000004264: D86C2260 37000022
	ds_read_b32 v56, v34 offset:13056                          // 00000000426C: D86C3300 38000022
	ds_read_b32 v57, v34 offset:13088                          // 000000004274: D86C3320 39000022
	ds_read_b32 v58, v34 offset:13120                          // 00000000427C: D86C3340 3A000022
	ds_read_b32 v59, v34 offset:13152                          // 000000004284: D86C3360 3B000022
	s_waitcnt lgkmcnt(0)                                       // 00000000428C: BF8CC07F
	s_barrier                                                  // 000000004290: BF8A0000
	s_mul_i32 s50, s37, 4                                      // 000000004294: 92328425
	s_mul_i32 s51, s37, 8                                      // 000000004298: 92338825
	s_mul_i32 s52, s37, 16                                     // 00000000429C: 92349025
	v_mov_b32_e32 v4, v24                                      // 0000000042A0: 7E080318
	v_mov_b32_e32 v5, 0                                        // 0000000042A4: 7E0A0280
	v_mov_b32_e32 v7, 0                                        // 0000000042A8: 7E0E0280
	v_mov_b32_e32 v9, 0                                        // 0000000042AC: 7E120280
	v_mov_b32_e32 v11, 0                                       // 0000000042B0: 7E160280
	v_mov_b32_e32 v6, v4                                       // 0000000042B4: 7E0C0304
	v_add_u32_e64 v10, v4, s51                                 // 0000000042B8: D134000A 00006704
	s_cmp_ge_u32 s77, s32                                      // 0000000042C0: BF09204D
	s_cbranch_scc1 label_08B2                                  // 0000000042C4: BF8500C0
	global_atomic_pk_add_bf16 v6, v44, s[80:81]                // 0000000042C8: DD488000 00502C06
	v_add_u32_e64 v8, v6, s50                                  // 0000000042D0: D1340008 00006506
	s_add_i32 s77, s77, 4                                      // 0000000042D8: 814D844D
	s_cmp_ge_u32 s77, s32                                      // 0000000042DC: BF09204D
	s_cbranch_scc1 label_08B2                                  // 0000000042E0: BF8500B9
	global_atomic_pk_add_bf16 v8, v45, s[80:81]                // 0000000042E4: DD488000 00502D08
	s_add_i32 s77, s77, 4                                      // 0000000042EC: 814D844D
	s_cmp_ge_u32 s77, s32                                      // 0000000042F0: BF09204D
	s_cbranch_scc1 label_08B2                                  // 0000000042F4: BF8500B4
	global_atomic_pk_add_bf16 v10, v46, s[80:81]               // 0000000042F8: DD488000 00502E0A
	v_add_u32_e64 v12, v10, s50                                // 000000004300: D134000C 0000650A
	s_add_i32 s77, s77, 4                                      // 000000004308: 814D844D
	s_cmp_ge_u32 s77, s32                                      // 00000000430C: BF09204D
	s_cbranch_scc1 label_08B2                                  // 000000004310: BF8500AD
	global_atomic_pk_add_bf16 v12, v47, s[80:81]               // 000000004314: DD488000 00502F0C
	s_add_i32 s77, s77, 4                                      // 00000000431C: 814D844D
	v_add_u32_e64 v4, v4, s52                                  // 000000004320: D1340004 00006904
	v_mov_b32_e32 v6, v4                                       // 000000004328: 7E0C0304
	v_add_u32_e64 v10, v4, s51                                 // 00000000432C: D134000A 00006704
	s_cmp_ge_u32 s77, s32                                      // 000000004334: BF09204D
	s_cbranch_scc1 label_08B2                                  // 000000004338: BF8500A3
	global_atomic_pk_add_bf16 v6, v48, s[80:81]                // 00000000433C: DD488000 00503006
	v_add_u32_e64 v8, v6, s50                                  // 000000004344: D1340008 00006506
	s_add_i32 s77, s77, 4                                      // 00000000434C: 814D844D
	s_cmp_ge_u32 s77, s32                                      // 000000004350: BF09204D
	s_cbranch_scc1 label_08B2                                  // 000000004354: BF85009C
	global_atomic_pk_add_bf16 v8, v49, s[80:81]                // 000000004358: DD488000 00503108
	s_add_i32 s77, s77, 4                                      // 000000004360: 814D844D
	s_cmp_ge_u32 s77, s32                                      // 000000004364: BF09204D
	s_cbranch_scc1 label_08B2                                  // 000000004368: BF850097
	global_atomic_pk_add_bf16 v10, v50, s[80:81]               // 00000000436C: DD488000 0050320A
	v_add_u32_e64 v12, v10, s50                                // 000000004374: D134000C 0000650A
	s_add_i32 s77, s77, 4                                      // 00000000437C: 814D844D
	s_cmp_ge_u32 s77, s32                                      // 000000004380: BF09204D
	s_cbranch_scc1 label_08B2                                  // 000000004384: BF850090
	global_atomic_pk_add_bf16 v12, v51, s[80:81]               // 000000004388: DD488000 0050330C
	s_add_i32 s77, s77, 4                                      // 000000004390: 814D844D
	v_add_u32_e64 v4, v4, s52                                  // 000000004394: D1340004 00006904
	v_mov_b32_e32 v6, v4                                       // 00000000439C: 7E0C0304
	v_add_u32_e64 v10, v4, s51                                 // 0000000043A0: D134000A 00006704
	s_cmp_ge_u32 s77, s32                                      // 0000000043A8: BF09204D
	s_cbranch_scc1 label_08B2                                  // 0000000043AC: BF850086
	global_atomic_pk_add_bf16 v6, v52, s[80:81]                // 0000000043B0: DD488000 00503406
	v_add_u32_e64 v8, v6, s50                                  // 0000000043B8: D1340008 00006506
	s_add_i32 s77, s77, 4                                      // 0000000043C0: 814D844D
	s_cmp_ge_u32 s77, s32                                      // 0000000043C4: BF09204D
	s_cbranch_scc1 label_08B2                                  // 0000000043C8: BF85007F
	global_atomic_pk_add_bf16 v8, v53, s[80:81]                // 0000000043CC: DD488000 00503508
	s_add_i32 s77, s77, 4                                      // 0000000043D4: 814D844D
	s_cmp_ge_u32 s77, s32                                      // 0000000043D8: BF09204D
	s_cbranch_scc1 label_08B2                                  // 0000000043DC: BF85007A
	global_atomic_pk_add_bf16 v10, v54, s[80:81]               // 0000000043E0: DD488000 0050360A
	v_add_u32_e64 v12, v10, s50                                // 0000000043E8: D134000C 0000650A
	s_add_i32 s77, s77, 4                                      // 0000000043F0: 814D844D
	s_cmp_ge_u32 s77, s32                                      // 0000000043F4: BF09204D
	s_cbranch_scc1 label_08B2                                  // 0000000043F8: BF850073
	global_atomic_pk_add_bf16 v12, v55, s[80:81]               // 0000000043FC: DD488000 0050370C
	s_add_i32 s77, s77, 4                                      // 000000004404: 814D844D
	v_add_u32_e64 v4, v4, s52                                  // 000000004408: D1340004 00006904
	v_mov_b32_e32 v6, v4                                       // 000000004410: 7E0C0304
	v_add_u32_e64 v10, v4, s51                                 // 000000004414: D134000A 00006704
	s_cmp_ge_u32 s77, s32                                      // 00000000441C: BF09204D
	s_cbranch_scc1 label_08B2                                  // 000000004420: BF850069
	global_atomic_pk_add_bf16 v6, v56, s[80:81]                // 000000004424: DD488000 00503806
	v_add_u32_e64 v8, v6, s50                                  // 00000000442C: D1340008 00006506
	s_add_i32 s77, s77, 4                                      // 000000004434: 814D844D
	s_cmp_ge_u32 s77, s32                                      // 000000004438: BF09204D
	s_cbranch_scc1 label_08B2                                  // 00000000443C: BF850062
	global_atomic_pk_add_bf16 v8, v57, s[80:81]                // 000000004440: DD488000 00503908
	s_add_i32 s77, s77, 4                                      // 000000004448: 814D844D
	s_cmp_ge_u32 s77, s32                                      // 00000000444C: BF09204D
	s_cbranch_scc1 label_08B2                                  // 000000004450: BF85005D
	global_atomic_pk_add_bf16 v10, v58, s[80:81]               // 000000004454: DD488000 00503A0A
	v_add_u32_e64 v12, v10, s50                                // 00000000445C: D134000C 0000650A
	s_add_i32 s77, s77, 4                                      // 000000004464: 814D844D
	s_cmp_ge_u32 s77, s32                                      // 000000004468: BF09204D
	s_cbranch_scc1 label_08B2                                  // 00000000446C: BF850056
	global_atomic_pk_add_bf16 v12, v59, s[80:81]               // 000000004470: DD488000 00503B0C
	s_add_i32 s77, s77, 4                                      // 000000004478: 814D844D
	v_add_u32_e64 v4, v4, s52                                  // 00000000447C: D1340004 00006904
	s_branch label_08B2                                        // 000000004484: BF820050

0000000000004488 <label_0862>:
	v_add_f32_e32 v76, v76, v12                                // 000000004488: 0298194C
	v_add_f32_e32 v77, v77, v13                                // 00000000448C: 029A1B4D
	v_perm_b32 v44, v77, v76, s48                              // 000000004490: D1ED002C 00C2994D
	v_add_f32_e32 v78, v78, v14                                // 000000004498: 029C1D4E
	v_add_f32_e32 v79, v79, v15                                // 00000000449C: 029E1F4F
	v_perm_b32 v45, v79, v78, s48                              // 0000000044A0: D1ED002D 00C29D4F
	buffer_store_dwordx2 v[44:45], v20, s[16:19], 0 offen      // 0000000044A8: E0741000 80042C14
	v_add_f32_e32 v80, v80, v16                                // 0000000044B0: 02A02150
	v_add_f32_e32 v81, v81, v17                                // 0000000044B4: 02A22351
	v_perm_b32 v46, v81, v80, s48                              // 0000000044B8: D1ED002E 00C2A151
	v_add_f32_e32 v82, v82, v18                                // 0000000044C0: 02A42552
	v_add_f32_e32 v83, v83, v19                                // 0000000044C4: 02A62753
	v_perm_b32 v47, v83, v82, s48                              // 0000000044C8: D1ED002F 00C2A553
	buffer_store_dwordx2 v[46:47], v20, s[16:19], 0 offen offset:32// 0000000044D0: E0741020 80042E14
	v_add_f32_e32 v84, v84, v12                                // 0000000044D8: 02A81954
	v_add_f32_e32 v85, v85, v13                                // 0000000044DC: 02AA1B55
	v_perm_b32 v48, v85, v84, s48                              // 0000000044E0: D1ED0030 00C2A955
	v_add_f32_e32 v86, v86, v14                                // 0000000044E8: 02AC1D56
	v_add_f32_e32 v87, v87, v15                                // 0000000044EC: 02AE1F57
	v_perm_b32 v49, v87, v86, s48                              // 0000000044F0: D1ED0031 00C2AD57
	buffer_store_dwordx2 v[48:49], v21, s[16:19], 0 offen      // 0000000044F8: E0741000 80043015
	v_add_f32_e32 v88, v88, v16                                // 000000004500: 02B02158
	v_add_f32_e32 v89, v89, v17                                // 000000004504: 02B22359
	v_perm_b32 v50, v89, v88, s48                              // 000000004508: D1ED0032 00C2B159
	v_add_f32_e32 v90, v90, v18                                // 000000004510: 02B4255A
	v_add_f32_e32 v91, v91, v19                                // 000000004514: 02B6275B
	v_perm_b32 v51, v91, v90, s48                              // 000000004518: D1ED0033 00C2B55B
	buffer_store_dwordx2 v[50:51], v21, s[16:19], 0 offen offset:32// 000000004520: E0741020 80043215
	v_add_f32_e32 v92, v92, v12                                // 000000004528: 02B8195C
	v_add_f32_e32 v93, v93, v13                                // 00000000452C: 02BA1B5D
	v_perm_b32 v52, v93, v92, s48                              // 000000004530: D1ED0034 00C2B95D
	v_add_f32_e32 v94, v94, v14                                // 000000004538: 02BC1D5E
	v_add_f32_e32 v95, v95, v15                                // 00000000453C: 02BE1F5F
	v_perm_b32 v53, v95, v94, s48                              // 000000004540: D1ED0035 00C2BD5F
	buffer_store_dwordx2 v[52:53], v22, s[16:19], 0 offen      // 000000004548: E0741000 80043416
	v_add_f32_e32 v96, v96, v16                                // 000000004550: 02C02160
	v_add_f32_e32 v97, v97, v17                                // 000000004554: 02C22361
	v_perm_b32 v54, v97, v96, s48                              // 000000004558: D1ED0036 00C2C161
	v_add_f32_e32 v98, v98, v18                                // 000000004560: 02C42562
	v_add_f32_e32 v99, v99, v19                                // 000000004564: 02C62763
	v_perm_b32 v55, v99, v98, s48                              // 000000004568: D1ED0037 00C2C563
	buffer_store_dwordx2 v[54:55], v22, s[16:19], 0 offen offset:32// 000000004570: E0741020 80043616
	v_add_f32_e32 v100, v100, v12                              // 000000004578: 02C81964
	v_add_f32_e32 v101, v101, v13                              // 00000000457C: 02CA1B65
	v_perm_b32 v56, v101, v100, s48                            // 000000004580: D1ED0038 00C2C965
	v_add_f32_e32 v102, v102, v14                              // 000000004588: 02CC1D66
	v_add_f32_e32 v103, v103, v15                              // 00000000458C: 02CE1F67
	v_perm_b32 v57, v103, v102, s48                            // 000000004590: D1ED0039 00C2CD67
	buffer_store_dwordx2 v[56:57], v23, s[16:19], 0 offen      // 000000004598: E0741000 80043817
	v_add_f32_e32 v104, v104, v16                              // 0000000045A0: 02D02168
	v_add_f32_e32 v105, v105, v17                              // 0000000045A4: 02D22369
	v_perm_b32 v58, v105, v104, s48                            // 0000000045A8: D1ED003A 00C2D169
	v_add_f32_e32 v106, v106, v18                              // 0000000045B0: 02D4256A
	v_add_f32_e32 v107, v107, v19                              // 0000000045B4: 02D6276B
	v_perm_b32 v59, v107, v106, s48                            // 0000000045B8: D1ED003B 00C2D56B
	buffer_store_dwordx2 v[58:59], v23, s[16:19], 0 offen offset:32// 0000000045C0: E0741020 80043A17

00000000000045c8 <label_08B2>:
	s_waitcnt vmcnt(0) expcnt(0) lgkmcnt(0)                    // 0000000045C8: BF8C0000
	s_endpgm                                                   // 0000000045CC: BF810000
